;; amdgpu-corpus repo=ROCm/rocFFT kind=compiled arch=gfx1100 opt=O3
	.text
	.amdgcn_target "amdgcn-amd-amdhsa--gfx1100"
	.amdhsa_code_object_version 6
	.protected	bluestein_single_fwd_len2401_dim1_half_op_CI_CI ; -- Begin function bluestein_single_fwd_len2401_dim1_half_op_CI_CI
	.globl	bluestein_single_fwd_len2401_dim1_half_op_CI_CI
	.p2align	8
	.type	bluestein_single_fwd_len2401_dim1_half_op_CI_CI,@function
bluestein_single_fwd_len2401_dim1_half_op_CI_CI: ; @bluestein_single_fwd_len2401_dim1_half_op_CI_CI
; %bb.0:
	s_load_b128 s[16:19], s[0:1], 0x28
	v_mul_u32_u24_e32 v1, 0x53a, v0
	s_mov_b32 s2, exec_lo
	v_mov_b32_e32 v3, 0
	s_delay_alu instid0(VALU_DEP_2) | instskip(NEXT) | instid1(VALU_DEP_1)
	v_lshrrev_b32_e32 v1, 16, v1
	v_add_nc_u32_e32 v2, s15, v1
	s_waitcnt lgkmcnt(0)
	s_delay_alu instid0(VALU_DEP_1)
	v_cmpx_gt_u64_e64 s[16:17], v[2:3]
	s_cbranch_execz .LBB0_2
; %bb.1:
	s_clause 0x1
	s_load_b128 s[8:11], s[0:1], 0x18
	s_load_b128 s[4:7], s[0:1], 0x0
	v_mul_lo_u16 v1, v1, 49
	s_load_b64 s[0:1], s[0:1], 0x38
	v_mov_b32_e32 v6, v2
	s_delay_alu instid0(VALU_DEP_2) | instskip(SKIP_2) | instid1(VALU_DEP_1)
	v_sub_nc_u16 v38, v0, v1
	scratch_store_b64 off, v[6:7], off offset:352 ; 8-byte Folded Spill
	v_and_b32_e32 v199, 0xffff, v38
	v_lshlrev_b32_e32 v251, 2, v199
	v_add_co_u32 v78, null, v199, 49
	s_waitcnt lgkmcnt(0)
	s_load_b128 s[12:15], s[8:9], 0x0
	s_clause 0x2
	global_load_b32 v52, v251, s[4:5] offset:1372
	global_load_b32 v50, v251, s[4:5] offset:2744
	global_load_b32 v31, v251, s[4:5]
	v_add_co_u32 v134, s2, s4, v251
	s_delay_alu instid0(VALU_DEP_1)
	v_add_co_ci_u32_e64 v135, null, s5, 0, s2
	v_add_nc_u32_e32 v253, 0x400, v251
	s_waitcnt lgkmcnt(0)
	v_mad_u64_u32 v[0:1], null, s14, v2, 0
	v_mad_u64_u32 v[2:3], null, s12, v199, 0
	s_mul_i32 s3, s13, 0x55c
	s_mul_hi_u32 s8, s12, 0x55c
	s_mul_i32 s2, s12, 0x55c
	s_add_i32 s3, s8, s3
	s_mul_hi_u32 s8, s12, 0xffffe09c
	s_mul_i32 s9, s12, 0xffffe09c
	s_delay_alu instid0(VALU_DEP_1) | instskip(SKIP_1) | instid1(VALU_DEP_1)
	v_mad_u64_u32 v[4:5], null, s15, v6, v[1:2]
	s_sub_i32 s8, s8, s12
	v_mad_u64_u32 v[5:6], null, s13, v199, v[3:4]
	v_mov_b32_e32 v1, v4
	s_mulk_i32 s13, 0xe09c
	s_delay_alu instid0(SALU_CYCLE_1) | instskip(NEXT) | instid1(VALU_DEP_1)
	s_add_i32 s8, s8, s13
	v_lshlrev_b64 v[0:1], 2, v[0:1]
	s_delay_alu instid0(VALU_DEP_3) | instskip(NEXT) | instid1(VALU_DEP_2)
	v_mov_b32_e32 v3, v5
	v_add_co_u32 v0, vcc_lo, s18, v0
	s_delay_alu instid0(VALU_DEP_2) | instskip(NEXT) | instid1(VALU_DEP_4)
	v_lshlrev_b64 v[2:3], 2, v[2:3]
	v_add_co_ci_u32_e32 v1, vcc_lo, s19, v1, vcc_lo
	s_delay_alu instid0(VALU_DEP_2) | instskip(NEXT) | instid1(VALU_DEP_2)
	v_add_co_u32 v2, vcc_lo, v0, v2
	v_add_co_ci_u32_e32 v3, vcc_lo, v1, v3, vcc_lo
	s_delay_alu instid0(VALU_DEP_2) | instskip(NEXT) | instid1(VALU_DEP_2)
	v_add_co_u32 v8, vcc_lo, v2, s2
	v_add_co_ci_u32_e32 v9, vcc_lo, s3, v3, vcc_lo
	v_add_co_u32 v0, vcc_lo, 0x1000, v134
	v_add_co_ci_u32_e32 v1, vcc_lo, 0, v135, vcc_lo
	s_clause 0x1
	global_load_b32 v7, v[2:3], off
	global_load_b32 v5, v[8:9], off
	v_add_co_u32 v2, vcc_lo, v8, s2
	v_add_co_ci_u32_e32 v3, vcc_lo, s3, v9, vcc_lo
	global_load_b32 v47, v[0:1], off offset:20
	v_add_co_u32 v8, vcc_lo, v2, s2
	v_add_co_ci_u32_e32 v9, vcc_lo, s3, v3, vcc_lo
	s_clause 0x1
	global_load_b32 v6, v[2:3], off
	global_load_b32 v4, v[8:9], off
	v_add_co_u32 v2, vcc_lo, v8, s2
	v_add_co_ci_u32_e32 v3, vcc_lo, s3, v9, vcc_lo
	s_clause 0x1
	global_load_b32 v44, v[0:1], off offset:1392
	global_load_b32 v39, v[0:1], off offset:2764
	global_load_b32 v10, v[2:3], off
	v_add_co_u32 v2, vcc_lo, v2, s2
	v_add_co_ci_u32_e32 v3, vcc_lo, s3, v3, vcc_lo
	v_add_co_u32 v81, vcc_lo, 0x2000, v134
	v_add_co_ci_u32_e32 v82, vcc_lo, 0, v135, vcc_lo
	global_load_b32 v8, v[2:3], off
	v_add_co_u32 v2, vcc_lo, v2, s2
	v_add_co_ci_u32_e32 v3, vcc_lo, s3, v3, vcc_lo
	global_load_b32 v40, v[81:82], off offset:40
	global_load_b32 v9, v[2:3], off
	v_add_co_u32 v2, vcc_lo, v2, s9
	v_add_co_ci_u32_e32 v3, vcc_lo, s8, v3, vcc_lo
	global_load_b32 v48, v251, s[4:5] offset:196
	global_load_b32 v11, v[2:3], off
	global_load_b32 v49, v251, s[4:5] offset:2940
	v_add_co_u32 v2, vcc_lo, v2, s2
	v_add_co_ci_u32_e32 v3, vcc_lo, s3, v3, vcc_lo
	s_clause 0x3
	global_load_b32 v53, v251, s[4:5] offset:392
	global_load_b32 v51, v251, s[4:5] offset:588
	;; [unrolled: 1-line block ×4, first 2 shown]
	v_add_co_u32 v12, vcc_lo, v2, s2
	v_add_co_ci_u32_e32 v13, vcc_lo, s3, v3, vcc_lo
	s_clause 0x1
	global_load_b32 v34, v251, s[4:5] offset:2548
	global_load_b32 v54, v[0:1], off offset:2960
	v_add_co_u32 v14, vcc_lo, v12, s2
	v_add_co_ci_u32_e32 v15, vcc_lo, s3, v13, vcc_lo
	global_load_b32 v35, v251, s[4:5] offset:1176
	v_add_co_u32 v16, vcc_lo, v14, s2
	v_add_co_ci_u32_e32 v17, vcc_lo, s3, v15, vcc_lo
	s_clause 0x4
	global_load_b32 v45, v[0:1], off offset:216
	global_load_b32 v41, v[0:1], off offset:412
	;; [unrolled: 1-line block ×5, first 2 shown]
	v_add_co_u32 v18, vcc_lo, v16, s2
	v_add_co_ci_u32_e32 v19, vcc_lo, s3, v17, vcc_lo
	global_load_b32 v26, v[2:3], off
	v_add_co_u32 v20, vcc_lo, v18, s2
	v_add_co_ci_u32_e32 v21, vcc_lo, s3, v19, vcc_lo
	s_clause 0x1
	global_load_b32 v33, v[0:1], off offset:1196
	global_load_b32 v32, v[0:1], off offset:2568
	v_add_co_u32 v22, vcc_lo, v20, s9
	v_add_co_ci_u32_e32 v23, vcc_lo, s8, v21, vcc_lo
	s_delay_alu instid0(VALU_DEP_2) | instskip(NEXT) | instid1(VALU_DEP_2)
	v_add_co_u32 v24, vcc_lo, v22, s2
	v_add_co_ci_u32_e32 v25, vcc_lo, s3, v23, vcc_lo
	s_delay_alu instid0(VALU_DEP_2) | instskip(NEXT) | instid1(VALU_DEP_2)
	v_add_co_u32 v2, vcc_lo, v24, s2
	v_add_co_ci_u32_e32 v3, vcc_lo, s3, v25, vcc_lo
	global_load_b32 v24, v[24:25], off
	s_waitcnt vmcnt(32)
	v_lshrrev_b32_e32 v57, 16, v52
	s_waitcnt vmcnt(31)
	v_lshrrev_b32_e32 v56, 16, v50
	;; [unrolled: 2-line block ×3, first 2 shown]
	s_clause 0x4
	scratch_store_b32 off, v31, off offset:396
	scratch_store_b32 off, v52, off offset:388
	scratch_store_b32 off, v29, off offset:392
	scratch_store_b32 off, v57, off offset:384
	scratch_store_b32 off, v50, off offset:380
	s_waitcnt vmcnt(29)
	v_lshrrev_b32_e32 v25, 16, v7
	v_mul_f16_e32 v27, v29, v7
	s_waitcnt vmcnt(28)
	v_lshrrev_b32_e32 v28, 16, v5
	v_mul_f16_e32 v30, v57, v5
	v_mul_f16_e32 v29, v29, v25
	s_waitcnt vmcnt(27)
	v_lshrrev_b32_e32 v55, 16, v47
	v_fma_f16 v25, v31, v25, -v27
	v_mul_f16_e32 v27, v57, v28
	v_fma_f16 v28, v52, v28, -v30
	v_fmac_f16_e32 v29, v31, v7
	s_waitcnt vmcnt(26)
	v_lshrrev_b32_e32 v7, 16, v6
	v_mul_f16_e32 v31, v56, v6
	v_fmac_f16_e32 v27, v52, v5
	v_pack_b32_f16 v5, v29, v25
	s_waitcnt vmcnt(25)
	v_lshrrev_b32_e32 v29, 16, v4
	v_mul_f16_e32 v25, v56, v7
	v_mul_f16_e32 v30, v55, v4
	v_fma_f16 v7, v50, v7, -v31
	s_waitcnt vmcnt(24)
	v_lshrrev_b32_e32 v52, 16, v44
	v_pack_b32_f16 v27, v27, v28
	v_fmac_f16_e32 v25, v50, v6
	v_fma_f16 v6, v47, v29, -v30
	v_mul_f16_e32 v28, v55, v29
	s_waitcnt vmcnt(22)
	v_lshrrev_b32_e32 v29, 16, v10
	v_lshrrev_b32_e32 v31, 16, v39
	v_pack_b32_f16 v7, v25, v7
	ds_store_b32 v251, v27 offset:1372
	v_mul_f16_e32 v27, v52, v10
	v_fmac_f16_e32 v28, v47, v4
	v_mul_f16_e32 v4, v52, v29
	s_waitcnt vmcnt(21)
	v_lshrrev_b32_e32 v25, 16, v8
	s_clause 0x1
	scratch_store_b32 off, v31, off offset:344
	scratch_store_b32 off, v39, off offset:348
	v_fma_f16 v27, v44, v29, -v27
	v_mul_f16_e32 v29, v31, v8
	v_fmac_f16_e32 v4, v44, v10
	v_mul_f16_e32 v10, v31, v25
	v_pack_b32_f16 v6, v28, v6
	ds_store_b32 v251, v7 offset:2744
	v_fma_f16 v7, v39, v25, -v29
	v_pack_b32_f16 v4, v4, v27
	v_fmac_f16_e32 v10, v39, v8
	ds_store_b32 v251, v6 offset:4116
	s_waitcnt vmcnt(20)
	v_lshrrev_b32_e32 v8, 16, v40
	s_clause 0x4
	scratch_store_b32 off, v56, off offset:376
	scratch_store_b32 off, v47, off offset:372
	scratch_store_b32 off, v55, off offset:368
	scratch_store_b32 off, v44, off offset:364
	scratch_store_b32 off, v52, off offset:360
	s_clause 0x5
	global_load_b32 v55, v[81:82], off offset:236
	global_load_b32 v50, v[81:82], off offset:432
	;; [unrolled: 1-line block ×6, first 2 shown]
	ds_store_b32 v251, v4 offset:5488
	v_pack_b32_f16 v4, v10, v7
	s_waitcnt vmcnt(25)
	v_lshrrev_b32_e32 v6, 16, v9
	v_mul_f16_e32 v7, v8, v9
	s_clause 0x1
	scratch_store_b32 off, v40, off offset:328
	scratch_store_b32 off, v8, off offset:332
	ds_store_b32 v251, v4 offset:6860
	v_fma_f16 v7, v40, v6, -v7
	v_mul_f16_e32 v6, v8, v6
	s_waitcnt vmcnt(24)
	v_lshrrev_b32_e32 v8, 16, v48
	scratch_store_b32 off, v48, off offset:336 ; 4-byte Folded Spill
	v_fmac_f16_e32 v6, v40, v9
	scratch_store_b32 off, v8, off offset:340 ; 4-byte Folded Spill
	global_load_b32 v9, v251, s[4:5] offset:1568
	v_pack_b32_f16 v4, v6, v7
	s_waitcnt vmcnt(24)
	v_lshrrev_b32_e32 v6, 16, v11
	v_mul_f16_e32 v7, v8, v11
	ds_store_b32 v251, v4 offset:8232
	v_fma_f16 v7, v48, v6, -v7
	v_mul_f16_e32 v6, v8, v6
	global_load_b32 v8, v251, s[4:5] offset:1764
	v_fmac_f16_e32 v6, v48, v11
	s_delay_alu instid0(VALU_DEP_1)
	v_pack_b32_f16 v4, v6, v7
	ds_store_2addr_b32 v251, v5, v4 offset1:49
	s_waitcnt vmcnt(11)
	v_lshrrev_b32_e32 v4, 16, v26
	s_waitcnt vmcnt(1)
	v_lshrrev_b32_e32 v6, 16, v9
	s_delay_alu instid0(VALU_DEP_1) | instskip(NEXT) | instid1(VALU_DEP_1)
	v_mul_f16_e32 v5, v6, v26
	v_fma_f16 v5, v9, v4, -v5
	v_mul_f16_e32 v4, v6, v4
	s_waitcnt vmcnt(0)
	scratch_store_b32 off, v8, off offset:272 ; 4-byte Folded Spill
	s_clause 0x2
	global_load_b32 v48, v251, s[4:5] offset:1960
	global_load_b32 v44, v251, s[4:5] offset:2156
	;; [unrolled: 1-line block ×3, first 2 shown]
	s_clause 0x1
	scratch_store_b32 off, v9, off offset:312
	scratch_store_b32 off, v6, off offset:316
	v_fmac_f16_e32 v4, v9, v26
	v_lshrrev_b32_e32 v9, 16, v8
	v_lshrrev_b32_e32 v6, 16, v24
	s_delay_alu instid0(VALU_DEP_3) | instskip(NEXT) | instid1(VALU_DEP_3)
	v_pack_b32_f16 v4, v4, v5
	v_mul_f16_e32 v7, v9, v24
	scratch_store_b32 off, v9, off offset:276 ; 4-byte Folded Spill
	v_fma_f16 v7, v8, v6, -v7
	v_mul_f16_e32 v6, v9, v6
	global_load_b32 v9, v251, s[4:5] offset:3136
	v_fmac_f16_e32 v6, v8, v24
	v_lshrrev_b32_e32 v8, 16, v49
	scratch_store_b32 off, v49, off offset:320 ; 4-byte Folded Spill
	v_pack_b32_f16 v5, v6, v7
	scratch_store_b32 off, v8, off offset:324 ; 4-byte Folded Spill
	global_load_b32 v6, v[12:13], off
	ds_store_2addr_b32 v253, v4, v5 offset0:136 offset1:185
	v_add_co_u32 v4, vcc_lo, v2, s2
	global_load_b32 v2, v[2:3], off
	v_add_co_ci_u32_e32 v5, vcc_lo, s3, v3, vcc_lo
	s_waitcnt vmcnt(2)
	v_lshrrev_b32_e32 v10, 16, v9
	scratch_store_b32 off, v9, off offset:248 ; 4-byte Folded Spill
	s_waitcnt vmcnt(1)
	v_lshrrev_b32_e32 v3, 16, v6
	v_mul_f16_e32 v7, v8, v6
	s_delay_alu instid0(VALU_DEP_1) | instskip(SKIP_3) | instid1(VALU_DEP_2)
	v_fma_f16 v7, v49, v3, -v7
	v_mul_f16_e32 v3, v8, v3
	s_waitcnt vmcnt(0)
	v_mul_f16_e32 v8, v10, v2
	v_fmac_f16_e32 v3, v49, v6
	v_lshrrev_b32_e32 v6, 16, v2
	s_delay_alu instid0(VALU_DEP_1) | instskip(SKIP_1) | instid1(VALU_DEP_1)
	v_fma_f16 v8, v9, v6, -v8
	v_mul_f16_e32 v6, v10, v6
	v_fmac_f16_e32 v6, v9, v2
	v_pack_b32_f16 v2, v3, v7
	v_lshrrev_b32_e32 v9, 16, v41
	s_delay_alu instid0(VALU_DEP_3) | instskip(SKIP_2) | instid1(VALU_DEP_2)
	v_pack_b32_f16 v3, v6, v8
	v_add_nc_u32_e32 v6, 0xa00, v251
	v_lshrrev_b32_e32 v8, 16, v45
	v_mov_b32_e32 v100, v6
	s_clause 0x3
	global_load_b32 v52, v251, s[4:5] offset:3332
	global_load_b32 v40, v251, s[4:5] offset:3528
	;; [unrolled: 1-line block ×4, first 2 shown]
	ds_store_2addr_b32 v6, v2, v3 offset0:95 offset1:144
	global_load_b32 v6, v[14:15], off
	v_add_co_u32 v2, vcc_lo, v4, s2
	global_load_b32 v4, v[4:5], off
	v_add_co_ci_u32_e32 v3, vcc_lo, s3, v5, vcc_lo
	s_clause 0x1
	scratch_store_b32 off, v45, off offset:296
	scratch_store_b32 off, v8, off offset:300
	v_add_nc_u32_e32 v207, 0x1000, v251
	s_clause 0x2
	scratch_store_b32 off, v10, off offset:252
	scratch_store_b32 off, v41, off offset:256
	;; [unrolled: 1-line block ×3, first 2 shown]
	v_add_nc_u32_e32 v222, 0x1400, v251
	v_add_nc_u32_e32 v250, 0x1a00, v251
	;; [unrolled: 1-line block ×9, first 2 shown]
	s_waitcnt vmcnt(1)
	v_lshrrev_b32_e32 v5, 16, v6
	v_mul_f16_e32 v7, v8, v6
	s_delay_alu instid0(VALU_DEP_1) | instskip(SKIP_3) | instid1(VALU_DEP_2)
	v_fma_f16 v7, v45, v5, -v7
	v_mul_f16_e32 v5, v8, v5
	s_waitcnt vmcnt(0)
	v_mul_f16_e32 v8, v9, v4
	v_fmac_f16_e32 v5, v45, v6
	v_lshrrev_b32_e32 v6, 16, v4
	s_delay_alu instid0(VALU_DEP_1) | instskip(SKIP_1) | instid1(VALU_DEP_1)
	v_fma_f16 v8, v41, v6, -v8
	v_mul_f16_e32 v6, v9, v6
	v_fmac_f16_e32 v6, v41, v4
	v_pack_b32_f16 v4, v5, v7
	s_delay_alu instid0(VALU_DEP_2)
	v_pack_b32_f16 v5, v6, v8
	global_load_b32 v6, v[16:17], off
	ds_store_2addr_b32 v207, v4, v5 offset0:54 offset1:103
	v_add_co_u32 v4, vcc_lo, v2, s2
	global_load_b32 v2, v[2:3], off
	s_clause 0x1
	global_load_b32 v8, v[0:1], off offset:1588
	global_load_b32 v9, v[0:1], off offset:1784
	v_add_co_ci_u32_e32 v5, vcc_lo, s3, v3, vcc_lo
	s_waitcnt vmcnt(3)
	v_lshrrev_b32_e32 v3, 16, v6
	s_waitcnt vmcnt(1)
	v_lshrrev_b32_e32 v10, 16, v8
	scratch_store_b32 off, v8, off offset:304 ; 4-byte Folded Spill
	s_waitcnt vmcnt(0)
	scratch_store_b32 off, v9, off offset:232 ; 4-byte Folded Spill
	s_clause 0x2
	global_load_b32 v49, v[0:1], off offset:1980
	global_load_b32 v31, v[0:1], off offset:2176
	;; [unrolled: 1-line block ×3, first 2 shown]
	v_mul_f16_e32 v7, v10, v6
	scratch_store_b32 off, v10, off offset:308 ; 4-byte Folded Spill
	v_fma_f16 v7, v8, v3, -v7
	v_mul_f16_e32 v3, v10, v3
	v_lshrrev_b32_e32 v10, 16, v9
	s_delay_alu instid0(VALU_DEP_2) | instskip(SKIP_3) | instid1(VALU_DEP_1)
	v_fmac_f16_e32 v3, v8, v6
	scratch_store_b32 off, v10, off offset:236 ; 4-byte Folded Spill
	v_lshrrev_b32_e32 v6, 16, v2
	v_mul_f16_e32 v8, v10, v2
	v_fma_f16 v8, v9, v6, -v8
	v_mul_f16_e32 v6, v10, v6
	s_delay_alu instid0(VALU_DEP_1) | instskip(SKIP_1) | instid1(VALU_DEP_2)
	v_fmac_f16_e32 v6, v9, v2
	v_pack_b32_f16 v2, v3, v7
	v_pack_b32_f16 v3, v6, v8
	global_load_b32 v6, v[18:19], off
	v_lshrrev_b32_e32 v18, 16, v48
	ds_store_2addr_b32 v222, v2, v3 offset0:141 offset1:190
	v_add_co_u32 v2, vcc_lo, v4, s2
	global_load_b32 v4, v[4:5], off
	global_load_b32 v7, v[0:1], off offset:3156
	v_add_co_ci_u32_e32 v3, vcc_lo, s3, v5, vcc_lo
	v_lshrrev_b32_e32 v5, 16, v54
	s_waitcnt vmcnt(0)
	v_lshrrev_b32_e32 v8, 16, v7
	scratch_store_b32 off, v7, off offset:240 ; 4-byte Folded Spill
	s_clause 0x3
	global_load_b32 v45, v[0:1], off offset:3352
	global_load_b32 v41, v[0:1], off offset:3548
	;; [unrolled: 1-line block ×4, first 2 shown]
	v_lshrrev_b32_e32 v0, 16, v6
	v_mul_f16_e32 v1, v5, v6
	s_clause 0x3
	scratch_store_b32 off, v8, off offset:244
	scratch_store_b32 off, v5, off offset:284
	;; [unrolled: 1-line block ×4, first 2 shown]
	v_fma_f16 v1, v54, v0, -v1
	v_mul_f16_e32 v0, v5, v0
	v_lshrrev_b32_e32 v5, 16, v4
	s_delay_alu instid0(VALU_DEP_2) | instskip(SKIP_1) | instid1(VALU_DEP_2)
	v_fmac_f16_e32 v0, v54, v6
	v_mul_f16_e32 v6, v8, v4
	v_pack_b32_f16 v0, v0, v1
	s_delay_alu instid0(VALU_DEP_2) | instskip(SKIP_1) | instid1(VALU_DEP_1)
	v_fma_f16 v6, v7, v5, -v6
	v_mul_f16_e32 v5, v8, v5
	v_fmac_f16_e32 v5, v7, v4
	global_load_b32 v4, v[20:21], off
	v_lshrrev_b32_e32 v7, 16, v50
	v_lshrrev_b32_e32 v20, 16, v44
	v_pack_b32_f16 v1, v5, v6
	v_lshrrev_b32_e32 v6, 16, v55
	s_clause 0x2
	scratch_store_b32 off, v55, off offset:288
	scratch_store_b32 off, v7, off offset:220
	scratch_store_b32 off, v20, off offset:164
	ds_store_2addr_b32 v250, v0, v1 offset0:100 offset1:149
	v_add_co_u32 v0, vcc_lo, v2, s9
	global_load_b32 v2, v[2:3], off
	v_add_co_ci_u32_e32 v1, vcc_lo, s8, v3, vcc_lo
	scratch_store_b32 off, v6, off offset:292 ; 4-byte Folded Spill
	s_waitcnt vmcnt(4)
	scratch_store_b32 off, v41, off offset:128 ; 4-byte Folded Spill
	s_waitcnt vmcnt(1)
	v_lshrrev_b32_e32 v3, 16, v4
	v_mul_f16_e32 v5, v6, v4
	s_delay_alu instid0(VALU_DEP_1) | instskip(SKIP_1) | instid1(VALU_DEP_1)
	v_fma_f16 v5, v55, v3, -v5
	v_mul_f16_e32 v3, v6, v3
	v_fmac_f16_e32 v3, v55, v4
	s_waitcnt vmcnt(0)
	v_lshrrev_b32_e32 v4, 16, v2
	v_mul_f16_e32 v6, v7, v2
	s_delay_alu instid0(VALU_DEP_1)
	v_fma_f16 v6, v50, v4, -v6
	v_mul_f16_e32 v4, v7, v4
	v_lshrrev_b32_e32 v7, 16, v51
	scratch_store_b32 off, v51, off offset:224 ; 4-byte Folded Spill
	v_fmac_f16_e32 v4, v50, v2
	scratch_store_b32 off, v7, off offset:228 ; 4-byte Folded Spill
	v_pack_b32_f16 v2, v3, v5
	v_pack_b32_f16 v3, v4, v6
	global_load_b32 v4, v[22:23], off
	v_lshrrev_b32_e32 v6, 16, v53
	scratch_store_b32 off, v53, off offset:264 ; 4-byte Folded Spill
	ds_store_2addr_b32 v186, v2, v3 offset0:59 offset1:108
	v_add_co_u32 v2, vcc_lo, v0, s2
	scratch_store_b32 off, v6, off offset:268 ; 4-byte Folded Spill
	global_load_b32 v0, v[0:1], off
	v_add_co_ci_u32_e32 v3, vcc_lo, s3, v1, vcc_lo
	global_load_b32 v16, v[2:3], off
	s_waitcnt vmcnt(2)
	v_lshrrev_b32_e32 v1, 16, v4
	v_mul_f16_e32 v5, v6, v4
	s_delay_alu instid0(VALU_DEP_1) | instskip(SKIP_3) | instid1(VALU_DEP_2)
	v_fma_f16 v5, v53, v1, -v5
	v_mul_f16_e32 v1, v6, v1
	s_waitcnt vmcnt(1)
	v_mul_f16_e32 v6, v7, v0
	v_fmac_f16_e32 v1, v53, v4
	v_lshrrev_b32_e32 v4, 16, v0
	s_waitcnt vmcnt(0)
	v_mul_f16_e32 v17, v18, v16
	s_delay_alu instid0(VALU_DEP_2) | instskip(SKIP_1) | instid1(VALU_DEP_1)
	v_fma_f16 v6, v51, v4, -v6
	v_mul_f16_e32 v4, v7, v4
	v_fmac_f16_e32 v4, v51, v0
	v_pack_b32_f16 v0, v1, v5
	s_delay_alu instid0(VALU_DEP_2) | instskip(SKIP_3) | instid1(VALU_DEP_2)
	v_pack_b32_f16 v1, v4, v6
	ds_store_2addr_b32 v251, v0, v1 offset0:98 offset1:147
	v_add_co_u32 v0, vcc_lo, v2, s2
	v_add_co_ci_u32_e32 v1, vcc_lo, s3, v3, vcc_lo
	v_add_co_u32 v2, vcc_lo, v0, s2
	s_delay_alu instid0(VALU_DEP_2) | instskip(NEXT) | instid1(VALU_DEP_2)
	v_add_co_ci_u32_e32 v3, vcc_lo, s3, v1, vcc_lo
	v_add_co_u32 v4, vcc_lo, v2, s2
	s_delay_alu instid0(VALU_DEP_2) | instskip(NEXT) | instid1(VALU_DEP_2)
	v_add_co_ci_u32_e32 v5, vcc_lo, s3, v3, vcc_lo
	v_add_co_u32 v6, vcc_lo, v4, s2
	s_delay_alu instid0(VALU_DEP_2) | instskip(SKIP_3) | instid1(VALU_DEP_2)
	v_add_co_ci_u32_e32 v7, vcc_lo, s3, v5, vcc_lo
	global_load_b32 v4, v[4:5], off
	v_add_co_u32 v8, vcc_lo, v6, s2
	v_add_co_ci_u32_e32 v9, vcc_lo, s3, v7, vcc_lo
	v_add_co_u32 v10, vcc_lo, v8, s9
	s_delay_alu instid0(VALU_DEP_2) | instskip(NEXT) | instid1(VALU_DEP_2)
	v_add_co_ci_u32_e32 v11, vcc_lo, s8, v9, vcc_lo
	v_add_co_u32 v12, vcc_lo, v10, s2
	s_delay_alu instid0(VALU_DEP_2) | instskip(NEXT) | instid1(VALU_DEP_2)
	v_add_co_ci_u32_e32 v13, vcc_lo, s3, v11, vcc_lo
	v_add_co_u32 v14, vcc_lo, v12, s2
	global_load_b32 v12, v[12:13], off
	v_add_co_ci_u32_e32 v15, vcc_lo, s3, v13, vcc_lo
	v_lshrrev_b32_e32 v13, 16, v16
	s_delay_alu instid0(VALU_DEP_1) | instskip(SKIP_1) | instid1(VALU_DEP_1)
	v_fma_f16 v17, v48, v13, -v17
	v_mul_f16_e32 v13, v18, v13
	v_fmac_f16_e32 v13, v48, v16
	s_waitcnt vmcnt(0)
	v_lshrrev_b32_e32 v16, 16, v12
	v_mul_f16_e32 v18, v20, v12
	s_delay_alu instid0(VALU_DEP_1) | instskip(SKIP_2) | instid1(VALU_DEP_2)
	v_fma_f16 v18, v44, v16, -v18
	v_mul_f16_e32 v16, v20, v16
	v_lshrrev_b32_e32 v20, 16, v34
	v_fmac_f16_e32 v16, v44, v12
	v_pack_b32_f16 v12, v13, v17
	v_lshrrev_b32_e32 v17, 16, v40
	scratch_store_b32 off, v20, off offset:44 ; 4-byte Folded Spill
	v_pack_b32_f16 v13, v16, v18
	v_lshrrev_b32_e32 v16, 16, v52
	s_clause 0x2
	scratch_store_b32 off, v52, off offset:208
	scratch_store_b32 off, v50, off offset:216
	;; [unrolled: 1-line block ×3, first 2 shown]
	ds_store_2addr_b32 v238, v12, v13 offset0:106 offset1:155
	global_load_b32 v12, v[0:1], off
	global_load_b32 v13, v[14:15], off
	v_add_co_u32 v0, vcc_lo, v14, s2
	v_add_co_ci_u32_e32 v1, vcc_lo, s3, v15, vcc_lo
	scratch_store_b32 off, v16, off offset:212 ; 4-byte Folded Spill
	v_lshrrev_b32_e32 v18, 16, v29
	scratch_store_b32 off, v18, off offset:92 ; 4-byte Folded Spill
	s_waitcnt vmcnt(1)
	v_lshrrev_b32_e32 v14, 16, v12
	v_mul_f16_e32 v15, v16, v12
	s_delay_alu instid0(VALU_DEP_1) | instskip(SKIP_3) | instid1(VALU_DEP_2)
	v_fma_f16 v15, v52, v14, -v15
	v_mul_f16_e32 v14, v16, v14
	s_waitcnt vmcnt(0)
	v_mul_f16_e32 v16, v17, v13
	v_fmac_f16_e32 v14, v52, v12
	v_lshrrev_b32_e32 v12, 16, v13
	s_delay_alu instid0(VALU_DEP_1) | instskip(SKIP_1) | instid1(VALU_DEP_1)
	v_fma_f16 v16, v40, v12, -v16
	v_mul_f16_e32 v12, v17, v12
	v_fmac_f16_e32 v12, v40, v13
	v_pack_b32_f16 v13, v14, v15
	v_lshrrev_b32_e32 v14, 16, v46
	v_lshrrev_b32_e32 v15, 16, v43
	scratch_store_b32 off, v43, off offset:144 ; 4-byte Folded Spill
	v_pack_b32_f16 v12, v12, v16
	s_clause 0x1
	scratch_store_b32 off, v14, off offset:188
	scratch_store_b32 off, v15, off offset:148
	ds_store_2addr_b32 v196, v13, v12 offset0:65 offset1:114
	global_load_b32 v12, v[2:3], off
	v_add_co_u32 v2, vcc_lo, v0, s2
	global_load_b32 v0, v[0:1], off
	v_add_co_ci_u32_e32 v3, vcc_lo, s3, v1, vcc_lo
	s_waitcnt vmcnt(1)
	v_lshrrev_b32_e32 v1, 16, v12
	v_mul_f16_e32 v13, v14, v12
	s_delay_alu instid0(VALU_DEP_1) | instskip(SKIP_3) | instid1(VALU_DEP_2)
	v_fma_f16 v13, v46, v1, -v13
	v_mul_f16_e32 v1, v14, v1
	s_waitcnt vmcnt(0)
	v_mul_f16_e32 v14, v15, v0
	v_fmac_f16_e32 v1, v46, v12
	v_lshrrev_b32_e32 v12, 16, v0
	s_delay_alu instid0(VALU_DEP_1) | instskip(SKIP_1) | instid1(VALU_DEP_1)
	v_fma_f16 v14, v43, v12, -v14
	v_mul_f16_e32 v12, v15, v12
	v_fmac_f16_e32 v12, v43, v0
	v_pack_b32_f16 v0, v1, v13
	v_lshrrev_b32_e32 v13, 16, v31
	s_delay_alu instid0(VALU_DEP_3)
	v_pack_b32_f16 v1, v12, v14
	v_lshrrev_b32_e32 v12, 16, v49
	s_clause 0x2
	scratch_store_b32 off, v49, off offset:192
	scratch_store_b32 off, v48, off offset:200
	scratch_store_b32 off, v13, off offset:124
	ds_store_2addr_b32 v207, v0, v1 offset0:152 offset1:201
	v_add_co_u32 v0, vcc_lo, v2, s2
	global_load_b32 v2, v[2:3], off
	v_add_co_ci_u32_e32 v1, vcc_lo, s3, v3, vcc_lo
	v_lshrrev_b32_e32 v3, 16, v4
	v_mul_f16_e32 v5, v12, v4
	scratch_store_b32 off, v12, off offset:196 ; 4-byte Folded Spill
	v_fma_f16 v5, v49, v3, -v5
	v_mul_f16_e32 v3, v12, v3
	s_delay_alu instid0(VALU_DEP_1) | instskip(SKIP_3) | instid1(VALU_DEP_1)
	v_fmac_f16_e32 v3, v49, v4
	s_waitcnt vmcnt(0)
	v_lshrrev_b32_e32 v4, 16, v2
	v_mul_f16_e32 v12, v13, v2
	v_fma_f16 v12, v31, v4, -v12
	v_mul_f16_e32 v4, v13, v4
	s_delay_alu instid0(VALU_DEP_1) | instskip(SKIP_1) | instid1(VALU_DEP_2)
	v_fmac_f16_e32 v4, v31, v2
	v_pack_b32_f16 v2, v3, v5
	v_pack_b32_f16 v3, v4, v12
	v_add_nc_u32_e32 v4, 0x1600, v251
	ds_store_2addr_b32 v4, v2, v3 offset0:111 offset1:160
	v_mov_b32_e32 v101, v4
	global_load_b32 v4, v[6:7], off
	v_add_co_u32 v2, vcc_lo, v0, s2
	global_load_b32 v0, v[0:1], off
	v_lshrrev_b32_e32 v6, 16, v45
	v_add_co_ci_u32_e32 v3, vcc_lo, s3, v1, vcc_lo
	v_lshrrev_b32_e32 v7, 16, v41
	s_clause 0x3
	scratch_store_b32 off, v45, off offset:168
	scratch_store_b32 off, v6, off offset:172
	;; [unrolled: 1-line block ×4, first 2 shown]
	s_waitcnt vmcnt(1)
	v_lshrrev_b32_e32 v1, 16, v4
	v_mul_f16_e32 v5, v6, v4
	s_delay_alu instid0(VALU_DEP_1) | instskip(SKIP_3) | instid1(VALU_DEP_2)
	v_fma_f16 v5, v45, v1, -v5
	v_mul_f16_e32 v1, v6, v1
	s_waitcnt vmcnt(0)
	v_mul_f16_e32 v6, v7, v0
	v_fmac_f16_e32 v1, v45, v4
	v_lshrrev_b32_e32 v4, 16, v0
	s_delay_alu instid0(VALU_DEP_1) | instskip(SKIP_2) | instid1(VALU_DEP_2)
	v_fma_f16 v6, v41, v4, -v6
	v_mul_f16_e32 v4, v7, v4
	v_lshrrev_b32_e32 v7, 16, v39
	v_fmac_f16_e32 v4, v41, v0
	v_pack_b32_f16 v0, v1, v5
	scratch_store_b32 off, v7, off offset:108 ; 4-byte Folded Spill
	v_pack_b32_f16 v1, v4, v6
	global_load_b32 v4, v[8:9], off
	v_lshrrev_b32_e32 v6, 16, v47
	s_clause 0x1
	scratch_store_b32 off, v47, off offset:176
	scratch_store_b32 off, v46, off offset:184
	ds_store_2addr_b32 v176, v0, v1 offset0:70 offset1:119
	v_add_co_u32 v0, vcc_lo, v2, s9
	scratch_store_b32 off, v6, off offset:180 ; 4-byte Folded Spill
	global_load_b32 v2, v[2:3], off
	v_add_co_ci_u32_e32 v1, vcc_lo, s8, v3, vcc_lo
	s_waitcnt vmcnt(1)
	v_lshrrev_b32_e32 v3, 16, v4
	v_mul_f16_e32 v5, v6, v4
	s_delay_alu instid0(VALU_DEP_1) | instskip(SKIP_3) | instid1(VALU_DEP_2)
	v_fma_f16 v5, v47, v3, -v5
	v_mul_f16_e32 v3, v6, v3
	s_waitcnt vmcnt(0)
	v_mul_f16_e32 v6, v7, v2
	v_fmac_f16_e32 v3, v47, v4
	v_lshrrev_b32_e32 v4, 16, v2
	s_delay_alu instid0(VALU_DEP_1)
	v_fma_f16 v6, v39, v4, -v6
	v_mul_f16_e32 v4, v7, v4
	v_lshrrev_b32_e32 v7, 16, v37
	s_clause 0x1
	scratch_store_b32 off, v37, off offset:112
	scratch_store_b32 off, v31, off offset:120
	v_fmac_f16_e32 v4, v39, v2
	v_pack_b32_f16 v2, v3, v5
	scratch_store_b32 off, v7, off offset:116 ; 4-byte Folded Spill
	v_pack_b32_f16 v3, v4, v6
	global_load_b32 v4, v[10:11], off
	v_lshrrev_b32_e32 v6, 16, v42
	s_clause 0x1
	scratch_store_b32 off, v42, off offset:152
	scratch_store_b32 off, v44, off offset:160
	ds_store_2addr_b32 v186, v2, v3 offset0:157 offset1:206
	v_add_co_u32 v2, vcc_lo, v0, s2
	scratch_store_b32 off, v6, off offset:156 ; 4-byte Folded Spill
	global_load_b32 v0, v[0:1], off
	v_add_co_ci_u32_e32 v3, vcc_lo, s3, v1, vcc_lo
	global_load_b32 v16, v[2:3], off
	s_waitcnt vmcnt(2)
	v_lshrrev_b32_e32 v1, 16, v4
	v_mul_f16_e32 v5, v6, v4
	s_delay_alu instid0(VALU_DEP_1) | instskip(SKIP_3) | instid1(VALU_DEP_2)
	v_fma_f16 v5, v42, v1, -v5
	v_mul_f16_e32 v1, v6, v1
	s_waitcnt vmcnt(1)
	v_mul_f16_e32 v6, v7, v0
	v_fmac_f16_e32 v1, v42, v4
	v_lshrrev_b32_e32 v4, 16, v0
	s_waitcnt vmcnt(0)
	v_mul_f16_e32 v17, v18, v16
	s_delay_alu instid0(VALU_DEP_2) | instskip(SKIP_1) | instid1(VALU_DEP_1)
	v_fma_f16 v6, v37, v4, -v6
	v_mul_f16_e32 v4, v7, v4
	v_fmac_f16_e32 v4, v37, v0
	v_pack_b32_f16 v0, v1, v5
	s_delay_alu instid0(VALU_DEP_2) | instskip(SKIP_3) | instid1(VALU_DEP_2)
	v_pack_b32_f16 v1, v4, v6
	ds_store_2addr_b32 v251, v0, v1 offset0:196 offset1:245
	v_add_co_u32 v0, vcc_lo, v2, s2
	v_add_co_ci_u32_e32 v1, vcc_lo, s3, v3, vcc_lo
	v_add_co_u32 v2, vcc_lo, v0, s2
	s_delay_alu instid0(VALU_DEP_2) | instskip(NEXT) | instid1(VALU_DEP_2)
	v_add_co_ci_u32_e32 v3, vcc_lo, s3, v1, vcc_lo
	v_add_co_u32 v4, vcc_lo, v2, s2
	s_delay_alu instid0(VALU_DEP_2) | instskip(NEXT) | instid1(VALU_DEP_2)
	v_add_co_ci_u32_e32 v5, vcc_lo, s3, v3, vcc_lo
	v_add_co_u32 v6, vcc_lo, v4, s2
	s_delay_alu instid0(VALU_DEP_2) | instskip(SKIP_3) | instid1(VALU_DEP_2)
	v_add_co_ci_u32_e32 v7, vcc_lo, s3, v5, vcc_lo
	global_load_b32 v4, v[4:5], off
	v_add_co_u32 v8, vcc_lo, v6, s2
	v_add_co_ci_u32_e32 v9, vcc_lo, s3, v7, vcc_lo
	v_add_co_u32 v10, vcc_lo, v8, s9
	s_delay_alu instid0(VALU_DEP_2) | instskip(NEXT) | instid1(VALU_DEP_2)
	v_add_co_ci_u32_e32 v11, vcc_lo, s8, v9, vcc_lo
	v_add_co_u32 v12, vcc_lo, v10, s2
	s_delay_alu instid0(VALU_DEP_2) | instskip(NEXT) | instid1(VALU_DEP_2)
	v_add_co_ci_u32_e32 v13, vcc_lo, s3, v11, vcc_lo
	v_add_co_u32 v14, vcc_lo, v12, s2
	global_load_b32 v12, v[12:13], off
	v_add_co_ci_u32_e32 v15, vcc_lo, s3, v13, vcc_lo
	v_lshrrev_b32_e32 v13, 16, v16
	s_delay_alu instid0(VALU_DEP_1) | instskip(SKIP_1) | instid1(VALU_DEP_1)
	v_fma_f16 v17, v29, v13, -v17
	v_mul_f16_e32 v13, v18, v13
	v_fmac_f16_e32 v13, v29, v16
	s_waitcnt vmcnt(0)
	v_lshrrev_b32_e32 v16, 16, v12
	v_mul_f16_e32 v18, v20, v12
	s_delay_alu instid0(VALU_DEP_1) | instskip(SKIP_1) | instid1(VALU_DEP_1)
	v_fma_f16 v18, v34, v16, -v18
	v_mul_f16_e32 v16, v20, v16
	v_fmac_f16_e32 v16, v34, v12
	v_pack_b32_f16 v12, v13, v17
	v_lshrrev_b32_e32 v17, 16, v24
	s_clause 0x1
	scratch_store_b32 off, v24, off offset:32
	scratch_store_b32 off, v34, off offset:40
	v_pack_b32_f16 v13, v16, v18
	v_lshrrev_b32_e32 v16, 16, v30
	s_clause 0x2
	scratch_store_b32 off, v30, off offset:96
	scratch_store_b32 off, v39, off offset:104
	scratch_store_b32 off, v17, off offset:36
	ds_store_2addr_b32 v181, v12, v13 offset0:76 offset1:125
	scratch_store_b32 off, v16, off offset:100 ; 4-byte Folded Spill
	global_load_b32 v12, v[0:1], off
	global_load_b32 v13, v[14:15], off
	v_add_co_u32 v0, vcc_lo, v14, s2
	v_add_co_ci_u32_e32 v1, vcc_lo, s3, v15, vcc_lo
	s_waitcnt vmcnt(1)
	v_lshrrev_b32_e32 v14, 16, v12
	v_mul_f16_e32 v15, v16, v12
	s_delay_alu instid0(VALU_DEP_1) | instskip(SKIP_3) | instid1(VALU_DEP_2)
	v_fma_f16 v15, v30, v14, -v15
	v_mul_f16_e32 v14, v16, v14
	s_waitcnt vmcnt(0)
	v_mul_f16_e32 v16, v17, v13
	v_fmac_f16_e32 v14, v30, v12
	v_lshrrev_b32_e32 v12, 16, v13
	s_delay_alu instid0(VALU_DEP_1) | instskip(SKIP_1) | instid1(VALU_DEP_1)
	v_fma_f16 v16, v24, v12, -v16
	v_mul_f16_e32 v12, v17, v12
	v_fmac_f16_e32 v12, v24, v13
	v_pack_b32_f16 v13, v14, v15
	v_lshrrev_b32_e32 v14, 16, v36
	v_lshrrev_b32_e32 v15, 16, v33
	scratch_store_b32 off, v29, off offset:88 ; 4-byte Folded Spill
	v_pack_b32_f16 v12, v12, v16
	s_clause 0x1
	scratch_store_b32 off, v14, off offset:84
	scratch_store_b32 off, v15, off offset:28
	ds_store_2addr_b32 v196, v13, v12 offset0:163 offset1:212
	global_load_b32 v12, v[2:3], off
	v_add_co_u32 v2, vcc_lo, v0, s2
	global_load_b32 v0, v[0:1], off
	v_add_co_ci_u32_e32 v3, vcc_lo, s3, v1, vcc_lo
	s_waitcnt vmcnt(1)
	v_lshrrev_b32_e32 v1, 16, v12
	v_mul_f16_e32 v13, v14, v12
	s_delay_alu instid0(VALU_DEP_1) | instskip(SKIP_3) | instid1(VALU_DEP_2)
	v_fma_f16 v13, v36, v1, -v13
	v_mul_f16_e32 v1, v14, v1
	s_waitcnt vmcnt(0)
	v_mul_f16_e32 v14, v15, v0
	v_fmac_f16_e32 v1, v36, v12
	v_lshrrev_b32_e32 v12, 16, v0
	s_delay_alu instid0(VALU_DEP_1) | instskip(SKIP_1) | instid1(VALU_DEP_1)
	v_fma_f16 v14, v33, v12, -v14
	v_mul_f16_e32 v12, v15, v12
	v_fmac_f16_e32 v12, v33, v0
	v_pack_b32_f16 v0, v1, v13
	v_lshrrev_b32_e32 v13, 16, v32
	s_delay_alu instid0(VALU_DEP_3)
	v_pack_b32_f16 v1, v12, v14
	v_lshrrev_b32_e32 v12, 16, v28
	s_clause 0x1
	scratch_store_b32 off, v36, off offset:80
	scratch_store_b32 off, v13, off offset:20
	ds_store_2addr_b32 v98, v0, v1 offset0:122 offset1:171
	scratch_store_b32 off, v12, off offset:76 ; 4-byte Folded Spill
	v_add_co_u32 v0, vcc_lo, v2, s2
	global_load_b32 v2, v[2:3], off
	v_add_co_ci_u32_e32 v1, vcc_lo, s3, v3, vcc_lo
	v_lshrrev_b32_e32 v3, 16, v4
	s_delay_alu instid0(VALU_DEP_1) | instskip(NEXT) | instid1(VALU_DEP_1)
	v_mul_f16_e32 v5, v12, v3
	v_fmac_f16_e32 v5, v28, v4
	v_mul_f16_e32 v4, v12, v4
	s_delay_alu instid0(VALU_DEP_1) | instskip(NEXT) | instid1(VALU_DEP_1)
	v_fma_f16 v3, v28, v3, -v4
	v_pack_b32_f16 v3, v5, v3
	s_waitcnt vmcnt(0)
	v_lshrrev_b32_e32 v4, 16, v2
	s_delay_alu instid0(VALU_DEP_1) | instskip(NEXT) | instid1(VALU_DEP_1)
	v_mul_f16_e32 v12, v13, v4
	v_fmac_f16_e32 v12, v32, v2
	v_mul_f16_e32 v2, v13, v2
	s_delay_alu instid0(VALU_DEP_1)
	v_fma_f16 v2, v32, v4, -v2
	global_load_b32 v4, v[6:7], off
	v_lshrrev_b32_e32 v6, 16, v26
	v_lshrrev_b32_e32 v7, 16, v19
	scratch_store_b32 off, v26, off offset:64 ; 4-byte Folded Spill
	v_pack_b32_f16 v2, v12, v2
	s_clause 0x2
	scratch_store_b32 off, v28, off offset:72
	scratch_store_b32 off, v6, off offset:68
	;; [unrolled: 1-line block ×3, first 2 shown]
	ds_store_2addr_b32 v195, v3, v2 offset0:81 offset1:130
	v_add_co_u32 v2, vcc_lo, v0, s2
	global_load_b32 v0, v[0:1], off
	v_add_co_ci_u32_e32 v3, vcc_lo, s3, v1, vcc_lo
	s_waitcnt vmcnt(1)
	v_lshrrev_b32_e32 v1, 16, v4
	s_delay_alu instid0(VALU_DEP_1) | instskip(NEXT) | instid1(VALU_DEP_1)
	v_mul_f16_e32 v5, v6, v1
	v_fmac_f16_e32 v5, v26, v4
	v_mul_f16_e32 v4, v6, v4
	s_delay_alu instid0(VALU_DEP_1) | instskip(SKIP_2) | instid1(VALU_DEP_2)
	v_fma_f16 v1, v26, v1, -v4
	s_waitcnt vmcnt(0)
	v_lshrrev_b32_e32 v4, 16, v0
	v_pack_b32_f16 v1, v5, v1
	s_delay_alu instid0(VALU_DEP_2)
	v_mul_f16_e32 v6, v7, v4
	v_lshrrev_b32_e32 v5, 16, v25
	s_clause 0x2
	scratch_store_b32 off, v19, off offset:8
	scratch_store_b32 off, v32, off offset:16
	;; [unrolled: 1-line block ×3, first 2 shown]
	v_fmac_f16_e32 v6, v19, v0
	v_mul_f16_e32 v0, v7, v0
	s_delay_alu instid0(VALU_DEP_1) | instskip(SKIP_1) | instid1(VALU_DEP_2)
	v_fma_f16 v0, v19, v4, -v0
	v_lshrrev_b32_e32 v4, 16, v27
	v_pack_b32_f16 v0, v6, v0
	ds_store_2addr_b32 v176, v1, v0 offset0:168 offset1:217
	global_load_b32 v0, v[8:9], off
	global_load_b32 v1, v[2:3], off
	s_clause 0x1
	scratch_store_b32 off, v25, off
	scratch_store_b32 off, v5, off offset:4
	s_load_b128 s[8:11], s[10:11], 0x0
	scratch_store_b32 off, v4, off offset:60 ; 4-byte Folded Spill
	s_waitcnt lgkmcnt(0)
	s_mul_hi_u32 s12, s8, 0x55c
	s_mul_i32 s13, s8, 0x55c
	s_waitcnt vmcnt(1)
	v_lshrrev_b32_e32 v2, 16, v0
	s_delay_alu instid0(VALU_DEP_1) | instskip(NEXT) | instid1(VALU_DEP_1)
	v_mul_f16_e32 v3, v4, v2
	v_fmac_f16_e32 v3, v27, v0
	v_mul_f16_e32 v0, v4, v0
	s_delay_alu instid0(VALU_DEP_1) | instskip(SKIP_2) | instid1(VALU_DEP_2)
	v_fma_f16 v0, v27, v2, -v0
	s_waitcnt vmcnt(0)
	v_lshrrev_b32_e32 v2, 16, v1
	v_pack_b32_f16 v0, v3, v0
	s_delay_alu instid0(VALU_DEP_2)
	v_mul_f16_e32 v4, v5, v2
	v_lshrrev_b32_e32 v3, 16, v35
	s_clause 0x1
	scratch_store_b32 off, v35, off offset:48
	scratch_store_b32 off, v27, off offset:56
	v_fmac_f16_e32 v4, v25, v1
	v_mul_f16_e32 v1, v5, v1
	scratch_store_b32 off, v3, off offset:52 ; 4-byte Folded Spill
	v_fma_f16 v1, v25, v2, -v1
	v_add_nc_u32_e32 v2, 0x2200, v251
	s_delay_alu instid0(VALU_DEP_2) | instskip(NEXT) | instid1(VALU_DEP_2)
	v_pack_b32_f16 v1, v4, v1
	v_mov_b32_e32 v233, v2
	ds_store_2addr_b32 v2, v0, v1 offset0:127 offset1:176
	global_load_b32 v0, v[10:11], off
	v_add_nc_u32_e32 v10, 0xe00, v251
	s_delay_alu instid0(VALU_DEP_1) | instskip(SKIP_2) | instid1(VALU_DEP_1)
	v_mov_b32_e32 v99, v10
	s_waitcnt vmcnt(0)
	v_lshrrev_b32_e32 v1, 16, v0
	v_mul_f16_e32 v2, v3, v1
	s_delay_alu instid0(VALU_DEP_1) | instskip(SKIP_1) | instid1(VALU_DEP_1)
	v_fmac_f16_e32 v2, v35, v0
	v_mul_f16_e32 v0, v3, v0
	v_fma_f16 v0, v35, v1, -v0
	s_delay_alu instid0(VALU_DEP_1)
	v_pack_b32_f16 v0, v2, v0
	ds_store_b32 v251, v0 offset:1176
	s_waitcnt lgkmcnt(0)
	s_waitcnt_vscnt null, 0x0
	s_barrier
	buffer_gl0_inv
	ds_load_2addr_b32 v[0:1], v253 offset0:38 offset1:87
	ds_load_2addr_b32 v[6:7], v186 offset0:10 offset1:59
	;; [unrolled: 1-line block ×3, first 2 shown]
	s_waitcnt lgkmcnt(2)
	v_lshrrev_b32_e32 v2, 16, v1
	s_waitcnt lgkmcnt(1)
	v_lshrrev_b32_e32 v3, 16, v6
	;; [unrolled: 2-line block ×3, first 2 shown]
	s_delay_alu instid0(VALU_DEP_2) | instskip(SKIP_4) | instid1(VALU_DEP_1)
	v_add_f16_e32 v12, v2, v3
	v_sub_f16_e32 v13, v2, v3
	ds_load_2addr_b32 v[2:3], v195 offset0:130 offset1:179
	s_waitcnt lgkmcnt(0)
	v_lshrrev_b32_e32 v5, 16, v3
	v_add_f16_e32 v14, v4, v5
	v_sub_f16_e32 v18, v4, v5
	ds_load_2addr_b32 v[4:5], v10 offset0:84 offset1:133
	ds_load_2addr_b32 v[10:11], v222 offset0:92 offset1:141
	v_sub_f16_e32 v39, v14, v12
	v_sub_f16_e32 v43, v18, v13
	s_delay_alu instid0(VALU_DEP_1) | instskip(SKIP_4) | instid1(VALU_DEP_1)
	v_mul_f16_e32 v45, 0xbb00, v43
	s_waitcnt lgkmcnt(1)
	v_lshrrev_b32_e32 v15, 16, v5
	s_waitcnt lgkmcnt(0)
	v_lshrrev_b32_e32 v16, 16, v10
	v_add_f16_e32 v17, v15, v16
	v_sub_f16_e32 v16, v16, v15
	v_add_f16_e32 v15, v14, v12
	s_delay_alu instid0(VALU_DEP_3)
	v_sub_f16_e32 v19, v12, v17
	v_sub_f16_e32 v40, v17, v14
	v_add_f16_e32 v12, v1, v6
	v_add_f16_e32 v14, v8, v3
	;; [unrolled: 1-line block ×4, first 2 shown]
	v_sub_f16_e32 v3, v8, v3
	v_sub_f16_e32 v5, v10, v5
	v_add_f16_e32 v17, v14, v12
	v_sub_f16_e32 v1, v1, v6
	v_sub_f16_e32 v41, v14, v12
	;; [unrolled: 1-line block ×4, first 2 shown]
	v_add_f16_e32 v22, v15, v17
	v_add_f16_e32 v6, v5, v3
	v_sub_f16_e32 v14, v5, v3
	v_sub_f16_e32 v15, v1, v5
	v_add_f16_e32 v5, v16, v18
	v_sub_f16_e32 v3, v3, v1
	v_add_f16_e32 v1, v6, v1
	v_sub_f16_e32 v17, v16, v18
	v_mul_f16_e32 v18, 0x3a52, v21
	v_add_f16_e32 v8, v5, v13
	ds_load_2addr_b32 v[5:6], v251 offset1:49
	v_mul_f16_e32 v19, 0x3a52, v19
	v_sub_f16_e32 v16, v13, v16
	v_mul_f16_e32 v58, 0xb846, v17
	v_mul_f16_e32 v59, 0xb846, v14
	v_fmamk_f16 v14, v42, 0x2b26, v18
	v_fmamk_f16 v17, v40, 0x2b26, v19
	v_mul_f16_e32 v42, 0x2b26, v42
	v_mul_f16_e32 v40, 0x2b26, v40
	v_fmac_f16_e32 v45, 0xb574, v16
	v_fmamk_f16 v60, v16, 0x3574, v58
	v_fmamk_f16 v61, v15, 0x3574, v59
	s_delay_alu instid0(VALU_DEP_3) | instskip(NEXT) | instid1(VALU_DEP_3)
	v_fmac_f16_e32 v45, 0x370e, v8
	v_fmac_f16_e32 v60, 0x370e, v8
	s_delay_alu instid0(VALU_DEP_3) | instskip(SKIP_3) | instid1(VALU_DEP_2)
	v_fmac_f16_e32 v61, 0x370e, v1
	s_waitcnt lgkmcnt(0)
	v_add_f16_e32 v10, v22, v5
	v_lshrrev_b32_e32 v5, 16, v5
	v_and_b32_e32 v12, 0xffff, v10
	s_delay_alu instid0(VALU_DEP_2) | instskip(SKIP_3) | instid1(VALU_DEP_4)
	v_add_f16_e32 v44, v20, v5
	v_fmac_f16_e32 v10, 0xbcab, v22
	v_mul_f16_e32 v5, 0xbb00, v3
	v_fma_f16 v3, v3, 0x3b00, -v59
	v_lshlrev_b32_e32 v13, 16, v44
	v_fmac_f16_e32 v44, 0xbcab, v20
	v_fma_f16 v20, v41, 0xb9e0, -v18
	v_fma_f16 v41, v41, 0x39e0, -v42
	v_fma_f16 v42, v43, 0x3b00, -v58
	v_fmac_f16_e32 v5, 0xb574, v15
	v_add_f16_e32 v62, v14, v10
	v_add_f16_e32 v47, v20, v10
	v_fma_f16 v20, v39, 0xb9e0, -v19
	v_fma_f16 v39, v39, 0x39e0, -v40
	v_or_b32_e32 v65, v13, v12
	v_mul_lo_u16 v12, v38, 7
	v_add_f16_e32 v10, v41, v10
	v_fmac_f16_e32 v42, 0x370e, v8
	v_add_f16_e32 v8, v39, v44
	v_fmac_f16_e32 v3, 0x370e, v1
	v_add_f16_e32 v46, v20, v44
	v_fmac_f16_e32 v5, 0x370e, v1
	v_add_f16_e32 v63, v17, v44
	v_and_b32_e32 v12, 0xffff, v12
	v_sub_f16_e32 v1, v10, v42
	v_add_f16_e32 v10, v42, v10
	v_sub_f16_e32 v39, v8, v3
	v_add_f16_e32 v3, v3, v8
	v_add_f16_e32 v20, v45, v47
	v_sub_f16_e32 v21, v46, v5
	v_add_f16_e32 v14, v62, v60
	v_sub_f16_e32 v15, v63, v61
	v_lshlrev_b32_e32 v184, 2, v12
	v_pack_b32_f16 v8, v10, v39
	v_pack_b32_f16 v1, v1, v3
	;; [unrolled: 1-line block ×4, first 2 shown]
	ds_load_b32 v48, v251 offset:9408
	ds_load_2addr_b32 v[49:50], v253 offset0:136 offset1:185
	ds_load_2addr_b32 v[51:52], v207 offset0:54 offset1:103
	;; [unrolled: 1-line block ×17, first 2 shown]
	s_waitcnt lgkmcnt(0)
	s_barrier
	buffer_gl0_inv
	ds_store_b32 v184, v65
	ds_store_2addr_b32 v184, v64, v57 offset0:1 offset1:2
	ds_store_2addr_b32 v184, v1, v8 offset0:3 offset1:4
	v_sub_f16_e32 v1, v47, v45
	v_sub_f16_e32 v3, v62, v60
	v_add_f16_e32 v8, v61, v63
	v_add_f16_e32 v5, v5, v46
	v_lshrrev_b32_e32 v39, 16, v53
	v_add_f16_e32 v10, v9, v53
	v_lshrrev_b32_e32 v42, 16, v51
	v_pack_b32_f16 v3, v3, v8
	v_pack_b32_f16 v1, v1, v5
	v_sub_f16_e32 v5, v49, v7
	v_add_f16_e32 v41, v51, v11
	ds_store_2addr_b32 v184, v1, v3 offset0:5 offset1:6
	v_lshrrev_b32_e32 v1, 16, v7
	v_add_f16_e32 v3, v49, v7
	v_lshrrev_b32_e32 v7, 16, v49
	s_delay_alu instid0(VALU_DEP_2) | instskip(NEXT) | instid1(VALU_DEP_2)
	v_sub_f16_e32 v44, v10, v3
	v_add_f16_e32 v8, v7, v1
	v_sub_f16_e32 v1, v7, v1
	v_lshrrev_b32_e32 v7, 16, v9
	v_sub_f16_e32 v9, v9, v53
	v_add_co_u32 v53, null, 0x93, v199
	s_delay_alu instid0(VALU_DEP_3)
	v_add_f16_e32 v40, v7, v39
	v_sub_f16_e32 v7, v7, v39
	v_lshrrev_b32_e32 v39, 16, v11
	v_sub_f16_e32 v11, v11, v51
	v_and_b32_e32 v61, 0xff, v53
	v_sub_f16_e32 v45, v40, v8
	s_delay_alu instid0(VALU_DEP_4)
	v_add_f16_e32 v43, v42, v39
	v_sub_f16_e32 v39, v39, v42
	v_add_f16_e32 v42, v10, v3
	v_sub_f16_e32 v3, v3, v41
	v_sub_f16_e32 v10, v41, v10
	v_add_f16_e32 v46, v11, v9
	v_sub_f16_e32 v47, v11, v9
	v_add_f16_e32 v41, v41, v42
	v_add_f16_e32 v42, v40, v8
	v_sub_f16_e32 v8, v8, v43
	v_sub_f16_e32 v40, v43, v40
	;; [unrolled: 1-line block ×4, first 2 shown]
	v_add_f16_e32 v42, v43, v42
	v_lshrrev_b32_e32 v43, 16, v6
	v_add_f16_e32 v6, v41, v6
	v_add_f16_e32 v5, v46, v5
	;; [unrolled: 1-line block ×3, first 2 shown]
	v_sub_f16_e32 v49, v39, v7
	v_sub_f16_e32 v39, v1, v39
	;; [unrolled: 1-line block ×3, first 2 shown]
	v_mul_f16_e32 v3, 0x3a52, v3
	v_add_f16_e32 v1, v46, v1
	v_and_b32_e32 v46, 0xffff, v6
	v_fmac_f16_e32 v6, 0xbcab, v41
	v_add_f16_e32 v41, v42, v43
	v_mul_f16_e32 v8, 0x3a52, v8
	s_delay_alu instid0(VALU_DEP_2) | instskip(SKIP_4) | instid1(VALU_DEP_3)
	v_lshlrev_b32_e32 v43, 16, v41
	v_fmac_f16_e32 v41, 0xbcab, v42
	v_mul_f16_e32 v42, 0x2b26, v10
	v_fmamk_f16 v10, v10, 0x2b26, v3
	v_fma_f16 v3, v44, 0xb9e0, -v3
	v_fma_f16 v42, v44, 0x39e0, -v42
	v_mul_f16_e32 v44, 0xb846, v49
	v_mul_f16_e32 v49, 0xbb00, v7
	s_delay_alu instid0(VALU_DEP_4)
	v_add_f16_e32 v3, v3, v6
	v_add_f16_e32 v10, v10, v6
	;; [unrolled: 1-line block ×3, first 2 shown]
	v_fma_f16 v7, v7, 0x3b00, -v44
	v_fmac_f16_e32 v49, 0xb574, v39
	v_fmamk_f16 v39, v39, 0x3574, v44
	v_mul_f16_e32 v44, 0x2b26, v40
	v_fmamk_f16 v40, v40, 0x2b26, v8
	v_fma_f16 v8, v45, 0xb9e0, -v8
	v_fmac_f16_e32 v7, 0x370e, v1
	v_fmac_f16_e32 v39, 0x370e, v1
	v_fma_f16 v44, v45, 0x39e0, -v44
	v_mul_f16_e32 v45, 0xb846, v47
	v_mul_f16_e32 v47, 0xbb00, v9
	v_add_f16_e32 v8, v8, v41
	v_add_f16_e32 v40, v40, v41
	;; [unrolled: 1-line block ×3, first 2 shown]
	v_fma_f16 v9, v9, 0x3b00, -v45
	v_fmac_f16_e32 v47, 0xb574, v11
	v_fmamk_f16 v11, v11, 0x3574, v45
	v_sub_f16_e32 v42, v6, v7
	v_add_f16_e32 v6, v7, v6
	v_fmac_f16_e32 v9, 0x370e, v5
	v_fmac_f16_e32 v49, 0x370e, v1
	;; [unrolled: 1-line block ×4, first 2 shown]
	s_delay_alu instid0(VALU_DEP_4) | instskip(SKIP_1) | instid1(VALU_DEP_2)
	v_sub_f16_e32 v7, v41, v9
	v_add_f16_e32 v9, v9, v41
	v_pack_b32_f16 v1, v6, v7
	v_sub_f16_e32 v6, v10, v39
	v_add_f16_e32 v7, v11, v40
	s_delay_alu instid0(VALU_DEP_4) | instskip(SKIP_1) | instid1(VALU_DEP_3)
	v_pack_b32_f16 v5, v42, v9
	v_add_f16_e32 v9, v47, v8
	v_pack_b32_f16 v6, v6, v7
	v_sub_f16_e32 v7, v3, v49
	s_delay_alu instid0(VALU_DEP_1) | instskip(SKIP_1) | instid1(VALU_DEP_1)
	v_pack_b32_f16 v7, v7, v9
	v_mul_u32_u24_e32 v9, 7, v78
	v_lshlrev_b32_e32 v255, 2, v9
	ds_store_2addr_b32 v255, v5, v1 offset0:3 offset1:4
	ds_store_2addr_b32 v255, v7, v6 offset0:5 offset1:6
	v_add_f16_e32 v1, v49, v3
	v_sub_f16_e32 v3, v8, v47
	v_add_f16_e32 v5, v10, v39
	v_sub_f16_e32 v6, v40, v11
	v_lshrrev_b32_e32 v7, 16, v55
	v_lshrrev_b32_e32 v11, 16, v36
	v_pack_b32_f16 v1, v1, v3
	v_add_f16_e32 v9, v36, v54
	v_pack_b32_f16 v3, v5, v6
	v_or_b32_e32 v5, v43, v46
	v_sub_f16_e32 v10, v36, v54
	v_add_f16_e32 v39, v52, v34
	v_sub_f16_e32 v40, v34, v52
	ds_store_2addr_b32 v255, v3, v1 offset0:1 offset1:2
	ds_store_b32 v255, v5
	v_lshrrev_b32_e32 v1, 16, v50
	v_lshrrev_b32_e32 v34, 16, v34
	v_add_f16_e32 v3, v50, v55
	v_sub_f16_e32 v6, v50, v55
	v_sub_f16_e32 v44, v40, v10
	v_add_f16_e32 v8, v1, v7
	v_sub_f16_e32 v1, v1, v7
	v_lshrrev_b32_e32 v7, 16, v54
	v_sub_f16_e32 v43, v9, v3
	v_add_co_u32 v54, null, 0xc4, v199
	v_add_co_u32 v55, null, 0xf5, v199
	s_delay_alu instid0(VALU_DEP_4) | instskip(SKIP_3) | instid1(VALU_DEP_4)
	v_add_f16_e32 v36, v11, v7
	v_sub_f16_e32 v7, v11, v7
	v_lshrrev_b32_e32 v11, 16, v52
	v_add_co_u32 v52, null, 0x62, v199
	v_sub_f16_e32 v42, v36, v8
	v_and_b32_e32 v60, 0xff, v54
	s_delay_alu instid0(VALU_DEP_4)
	v_add_f16_e32 v41, v11, v34
	v_sub_f16_e32 v11, v34, v11
	v_add_f16_e32 v34, v36, v8
	v_and_b32_e32 v57, 0xff, v52
	v_and_b32_e32 v59, 0xffff, v55
	v_sub_f16_e32 v8, v8, v41
	v_sub_f16_e32 v36, v41, v36
	v_add_f16_e32 v34, v41, v34
	v_add_f16_e32 v41, v9, v3
	v_sub_f16_e32 v3, v3, v39
	v_sub_f16_e32 v9, v39, v9
	;; [unrolled: 1-line block ×3, first 2 shown]
	v_mul_f16_e32 v8, 0x3a52, v8
	v_add_f16_e32 v39, v39, v41
	v_add_f16_e32 v41, v40, v10
	v_sub_f16_e32 v40, v6, v40
	v_sub_f16_e32 v10, v10, v6
	v_mul_f16_e32 v3, 0x3a52, v3
	v_mul_f16_e32 v5, 0x2b26, v9
	v_add_f16_e32 v6, v41, v6
	v_add_f16_e32 v41, v11, v7
	v_sub_f16_e32 v11, v1, v11
	v_sub_f16_e32 v7, v7, v1
	v_fmamk_f16 v9, v9, 0x2b26, v3
	v_fma_f16 v3, v43, 0xb9e0, -v3
	v_add_f16_e32 v1, v41, v1
	v_add_f16_e32 v41, v39, v32
	v_lshrrev_b32_e32 v32, 16, v32
	v_fma_f16 v5, v43, 0x39e0, -v5
	v_mul_f16_e32 v43, 0xbb00, v7
	s_delay_alu instid0(VALU_DEP_4) | instskip(NEXT) | instid1(VALU_DEP_4)
	v_and_b32_e32 v46, 0xffff, v41
	v_add_f16_e32 v32, v34, v32
	v_fmac_f16_e32 v41, 0xbcab, v39
	s_delay_alu instid0(VALU_DEP_4) | instskip(NEXT) | instid1(VALU_DEP_3)
	v_fmac_f16_e32 v43, 0xb574, v11
	v_lshlrev_b32_e32 v39, 16, v32
	v_fmac_f16_e32 v32, 0xbcab, v34
	v_mul_f16_e32 v34, 0xb846, v45
	v_add_f16_e32 v5, v5, v41
	v_add_f16_e32 v9, v9, v41
	;; [unrolled: 1-line block ×3, first 2 shown]
	v_fmac_f16_e32 v43, 0x370e, v1
	v_fmamk_f16 v11, v11, 0x3574, v34
	v_fma_f16 v7, v7, 0x3b00, -v34
	v_mul_f16_e32 v34, 0x2b26, v36
	v_fmamk_f16 v36, v36, 0x2b26, v8
	v_fma_f16 v8, v42, 0xb9e0, -v8
	v_fmac_f16_e32 v11, 0x370e, v1
	v_fmac_f16_e32 v7, 0x370e, v1
	v_fma_f16 v34, v42, 0x39e0, -v34
	v_mul_f16_e32 v42, 0xb846, v44
	v_mul_f16_e32 v44, 0xbb00, v10
	v_add_f16_e32 v8, v8, v32
	v_add_f16_e32 v36, v36, v32
	;; [unrolled: 1-line block ×3, first 2 shown]
	v_fma_f16 v10, v10, 0x3b00, -v42
	v_fmac_f16_e32 v44, 0xb574, v40
	v_fmamk_f16 v40, v40, 0x3574, v42
	v_sub_f16_e32 v34, v5, v7
	v_add_f16_e32 v5, v7, v5
	v_fmac_f16_e32 v10, 0x370e, v6
	v_fmac_f16_e32 v44, 0x370e, v6
	;; [unrolled: 1-line block ×3, first 2 shown]
	v_sub_f16_e32 v6, v9, v11
	s_delay_alu instid0(VALU_DEP_4) | instskip(SKIP_2) | instid1(VALU_DEP_3)
	v_sub_f16_e32 v7, v32, v10
	v_add_f16_e32 v10, v10, v32
	v_sub_f16_e32 v32, v35, v26
	v_pack_b32_f16 v1, v5, v7
	v_add_f16_e32 v7, v40, v36
	s_delay_alu instid0(VALU_DEP_4) | instskip(SKIP_1) | instid1(VALU_DEP_3)
	v_pack_b32_f16 v5, v34, v10
	v_add_f16_e32 v10, v44, v8
	v_pack_b32_f16 v6, v6, v7
	v_sub_f16_e32 v7, v3, v43
	s_delay_alu instid0(VALU_DEP_1) | instskip(SKIP_1) | instid1(VALU_DEP_1)
	v_pack_b32_f16 v7, v7, v10
	v_mul_u32_u24_e32 v10, 7, v52
	v_lshlrev_b32_e32 v219, 2, v10
	ds_store_2addr_b32 v219, v5, v1 offset0:3 offset1:4
	ds_store_2addr_b32 v219, v7, v6 offset0:5 offset1:6
	v_add_f16_e32 v1, v43, v3
	v_sub_f16_e32 v3, v8, v44
	v_add_f16_e32 v5, v9, v11
	v_sub_f16_e32 v6, v36, v40
	v_lshrrev_b32_e32 v7, 16, v30
	v_lshrrev_b32_e32 v11, 16, v28
	v_pack_b32_f16 v1, v1, v3
	v_add_f16_e32 v9, v37, v28
	v_pack_b32_f16 v3, v5, v6
	v_or_b32_e32 v5, v39, v46
	v_sub_f16_e32 v6, v30, v56
	v_sub_f16_e32 v10, v37, v28
	ds_store_2addr_b32 v219, v3, v1 offset0:1 offset1:2
	ds_store_b32 v219, v5
	v_lshrrev_b32_e32 v1, 16, v56
	v_add_f16_e32 v3, v30, v56
	v_add_f16_e32 v30, v26, v35
	v_lshrrev_b32_e32 v26, 16, v26
	v_sub_f16_e32 v39, v32, v10
	v_add_f16_e32 v8, v7, v1
	v_sub_f16_e32 v1, v7, v1
	v_lshrrev_b32_e32 v7, 16, v37
	v_add_f16_e32 v37, v32, v10
	v_sub_f16_e32 v32, v6, v32
	v_sub_f16_e32 v10, v10, v6
	v_add_co_u32 v56, null, 0x126, v199
	v_add_f16_e32 v28, v7, v11
	v_sub_f16_e32 v7, v7, v11
	v_lshrrev_b32_e32 v11, 16, v35
	v_sub_f16_e32 v35, v9, v3
	v_add_f16_e32 v6, v37, v6
	v_sub_f16_e32 v36, v28, v8
	v_and_b32_e32 v58, 0xffff, v56
	v_add_f16_e32 v34, v26, v11
	v_sub_f16_e32 v11, v11, v26
	v_add_f16_e32 v26, v9, v3
	v_sub_f16_e32 v3, v3, v30
	v_sub_f16_e32 v9, v30, v9
	s_delay_alu instid0(VALU_DEP_4) | instskip(NEXT) | instid1(VALU_DEP_4)
	v_add_f16_e32 v37, v11, v7
	v_add_f16_e32 v26, v30, v26
	;; [unrolled: 1-line block ×3, first 2 shown]
	v_sub_f16_e32 v8, v8, v34
	v_sub_f16_e32 v28, v34, v28
	;; [unrolled: 1-line block ×4, first 2 shown]
	v_add_f16_e32 v30, v34, v30
	v_lshrrev_b32_e32 v34, 16, v33
	v_add_f16_e32 v33, v26, v33
	v_sub_f16_e32 v7, v7, v1
	v_add_f16_e32 v1, v37, v1
	v_mul_f16_e32 v3, 0x3a52, v3
	v_mul_f16_e32 v5, 0x2b26, v9
	v_and_b32_e32 v37, 0xffff, v33
	v_fmac_f16_e32 v33, 0xbcab, v26
	v_add_f16_e32 v26, v30, v34
	v_fmamk_f16 v9, v9, 0x2b26, v3
	v_fma_f16 v3, v35, 0xb9e0, -v3
	v_fma_f16 v5, v35, 0x39e0, -v5
	v_mul_f16_e32 v35, 0xbb00, v7
	v_lshlrev_b32_e32 v34, 16, v26
	v_fmac_f16_e32 v26, 0xbcab, v30
	v_mul_f16_e32 v30, 0xb846, v40
	v_mul_f16_e32 v8, 0x3a52, v8
	v_fmac_f16_e32 v35, 0xb574, v11
	v_add_f16_e32 v5, v5, v33
	v_add_f16_e32 v9, v9, v33
	v_fmamk_f16 v11, v11, 0x3574, v30
	v_fma_f16 v7, v7, 0x3b00, -v30
	v_mul_f16_e32 v30, 0x2b26, v28
	v_fmamk_f16 v28, v28, 0x2b26, v8
	v_fma_f16 v8, v36, 0xb9e0, -v8
	v_fmac_f16_e32 v11, 0x370e, v1
	v_fmac_f16_e32 v7, 0x370e, v1
	v_fma_f16 v30, v36, 0x39e0, -v30
	v_mul_f16_e32 v36, 0xb846, v39
	v_mul_f16_e32 v39, 0xbb00, v10
	v_add_f16_e32 v8, v8, v26
	v_add_f16_e32 v28, v28, v26
	;; [unrolled: 1-line block ×3, first 2 shown]
	v_fma_f16 v10, v10, 0x3b00, -v36
	v_fmac_f16_e32 v39, 0xb574, v32
	v_fmamk_f16 v32, v32, 0x3574, v36
	v_sub_f16_e32 v30, v5, v7
	v_add_f16_e32 v5, v7, v5
	v_fmac_f16_e32 v10, 0x370e, v6
	v_add_f16_e32 v3, v3, v33
	v_fmac_f16_e32 v32, 0x370e, v6
	v_fmac_f16_e32 v35, 0x370e, v1
	;; [unrolled: 1-line block ×3, first 2 shown]
	v_sub_f16_e32 v7, v26, v10
	v_add_f16_e32 v10, v10, v26
	v_sub_f16_e32 v6, v9, v11
	v_sub_f16_e32 v26, v22, v27
	s_delay_alu instid0(VALU_DEP_4) | instskip(SKIP_3) | instid1(VALU_DEP_3)
	v_pack_b32_f16 v1, v5, v7
	v_add_f16_e32 v7, v32, v28
	v_pack_b32_f16 v5, v30, v10
	v_add_f16_e32 v10, v39, v8
	v_pack_b32_f16 v6, v6, v7
	v_sub_f16_e32 v7, v3, v35
	s_delay_alu instid0(VALU_DEP_1) | instskip(SKIP_1) | instid1(VALU_DEP_1)
	v_pack_b32_f16 v7, v7, v10
	v_mul_u32_u24_e32 v10, 7, v53
	v_lshlrev_b32_e32 v210, 2, v10
	ds_store_2addr_b32 v210, v5, v1 offset0:3 offset1:4
	ds_store_2addr_b32 v210, v7, v6 offset0:5 offset1:6
	v_add_f16_e32 v1, v35, v3
	v_sub_f16_e32 v3, v8, v39
	v_add_f16_e32 v5, v9, v11
	v_sub_f16_e32 v6, v28, v32
	v_lshrrev_b32_e32 v7, 16, v20
	v_lshrrev_b32_e32 v11, 16, v24
	v_pack_b32_f16 v1, v1, v3
	v_add_f16_e32 v9, v24, v29
	v_pack_b32_f16 v3, v5, v6
	v_or_b32_e32 v5, v34, v37
	v_sub_f16_e32 v6, v31, v20
	v_sub_f16_e32 v10, v24, v29
	v_add_f16_e32 v24, v27, v22
	ds_store_2addr_b32 v210, v3, v1 offset0:1 offset1:2
	ds_store_b32 v210, v5
	v_lshrrev_b32_e32 v1, 16, v31
	v_add_f16_e32 v3, v31, v20
	v_lshrrev_b32_e32 v22, 16, v22
	v_sub_f16_e32 v30, v26, v10
	s_delay_alu instid0(VALU_DEP_4) | instskip(SKIP_3) | instid1(VALU_DEP_2)
	v_add_f16_e32 v8, v1, v7
	v_sub_f16_e32 v1, v1, v7
	v_lshrrev_b32_e32 v7, 16, v29
	v_sub_f16_e32 v28, v9, v3
	v_add_f16_e32 v20, v11, v7
	v_sub_f16_e32 v7, v11, v7
	v_lshrrev_b32_e32 v11, 16, v27
	s_delay_alu instid0(VALU_DEP_3) | instskip(NEXT) | instid1(VALU_DEP_2)
	v_sub_f16_e32 v29, v20, v8
	v_add_f16_e32 v27, v11, v22
	v_sub_f16_e32 v11, v22, v11
	v_add_f16_e32 v22, v9, v3
	v_sub_f16_e32 v3, v3, v24
	v_sub_f16_e32 v9, v24, v9
	s_delay_alu instid0(VALU_DEP_4) | instskip(NEXT) | instid1(VALU_DEP_4)
	v_sub_f16_e32 v31, v11, v7
	v_add_f16_e32 v22, v24, v22
	v_add_f16_e32 v24, v20, v8
	v_sub_f16_e32 v8, v8, v27
	v_sub_f16_e32 v20, v27, v20
	v_mul_f16_e32 v3, 0x3a52, v3
	v_mul_f16_e32 v5, 0x2b26, v9
	v_add_f16_e32 v24, v27, v24
	v_add_f16_e32 v27, v26, v10
	v_sub_f16_e32 v26, v6, v26
	v_sub_f16_e32 v10, v10, v6
	v_fmamk_f16 v9, v9, 0x2b26, v3
	v_fma_f16 v3, v28, 0xb9e0, -v3
	v_add_f16_e32 v6, v27, v6
	v_add_f16_e32 v27, v11, v7
	v_sub_f16_e32 v11, v1, v11
	v_sub_f16_e32 v7, v7, v1
	v_fma_f16 v5, v28, 0x39e0, -v5
	v_mul_f16_e32 v8, 0x3a52, v8
	v_add_f16_e32 v1, v27, v1
	v_add_f16_e32 v27, v22, v18
	v_lshrrev_b32_e32 v18, 16, v18
	v_mul_f16_e32 v28, 0xbb00, v7
	s_delay_alu instid0(VALU_DEP_3) | instskip(NEXT) | instid1(VALU_DEP_3)
	v_and_b32_e32 v32, 0xffff, v27
	v_add_f16_e32 v18, v24, v18
	v_fmac_f16_e32 v27, 0xbcab, v22
	s_delay_alu instid0(VALU_DEP_4) | instskip(NEXT) | instid1(VALU_DEP_3)
	v_fmac_f16_e32 v28, 0xb574, v11
	v_lshlrev_b32_e32 v22, 16, v18
	v_fmac_f16_e32 v18, 0xbcab, v24
	v_mul_f16_e32 v24, 0xb846, v31
	v_add_f16_e32 v5, v5, v27
	v_add_f16_e32 v9, v9, v27
	;; [unrolled: 1-line block ×3, first 2 shown]
	v_fmac_f16_e32 v28, 0x370e, v1
	v_fmamk_f16 v11, v11, 0x3574, v24
	v_fma_f16 v7, v7, 0x3b00, -v24
	v_mul_f16_e32 v24, 0x2b26, v20
	v_fmamk_f16 v20, v20, 0x2b26, v8
	v_fma_f16 v8, v29, 0xb9e0, -v8
	v_fmac_f16_e32 v11, 0x370e, v1
	v_fmac_f16_e32 v7, 0x370e, v1
	v_fma_f16 v24, v29, 0x39e0, -v24
	v_mul_f16_e32 v29, 0xb846, v30
	v_mul_f16_e32 v30, 0xbb00, v10
	v_add_f16_e32 v8, v8, v18
	v_add_f16_e32 v20, v20, v18
	;; [unrolled: 1-line block ×3, first 2 shown]
	v_fma_f16 v10, v10, 0x3b00, -v29
	v_fmac_f16_e32 v30, 0xb574, v26
	v_fmamk_f16 v26, v26, 0x3574, v29
	v_sub_f16_e32 v24, v5, v7
	v_add_f16_e32 v5, v7, v5
	v_fmac_f16_e32 v10, 0x370e, v6
	v_fmac_f16_e32 v30, 0x370e, v6
	;; [unrolled: 1-line block ×3, first 2 shown]
	v_sub_f16_e32 v6, v9, v11
	s_delay_alu instid0(VALU_DEP_4) | instskip(SKIP_2) | instid1(VALU_DEP_3)
	v_sub_f16_e32 v7, v18, v10
	v_add_f16_e32 v10, v10, v18
	v_sub_f16_e32 v18, v12, v21
	v_pack_b32_f16 v1, v5, v7
	v_add_f16_e32 v7, v26, v20
	s_delay_alu instid0(VALU_DEP_4) | instskip(SKIP_1) | instid1(VALU_DEP_3)
	v_pack_b32_f16 v5, v24, v10
	v_add_f16_e32 v10, v30, v8
	v_pack_b32_f16 v6, v6, v7
	v_sub_f16_e32 v7, v3, v28
	s_delay_alu instid0(VALU_DEP_1) | instskip(SKIP_1) | instid1(VALU_DEP_1)
	v_pack_b32_f16 v7, v7, v10
	v_mul_u32_u24_e32 v10, 7, v54
	v_lshlrev_b32_e32 v201, 2, v10
	ds_store_2addr_b32 v201, v5, v1 offset0:3 offset1:4
	ds_store_2addr_b32 v201, v7, v6 offset0:5 offset1:6
	v_add_f16_e32 v1, v28, v3
	v_sub_f16_e32 v3, v8, v30
	v_add_f16_e32 v5, v9, v11
	v_sub_f16_e32 v6, v20, v26
	v_lshrrev_b32_e32 v10, 16, v21
	v_add_f16_e32 v11, v12, v21
	v_pack_b32_f16 v1, v1, v3
	v_lshrrev_b32_e32 v12, 16, v12
	v_pack_b32_f16 v3, v5, v6
	v_or_b32_e32 v5, v22, v32
	v_sub_f16_e32 v6, v25, v14
	v_lshrrev_b32_e32 v7, 16, v23
	v_add_f16_e32 v20, v12, v10
	ds_store_2addr_b32 v201, v3, v1 offset0:1 offset1:2
	ds_store_b32 v201, v5
	v_lshrrev_b32_e32 v1, 16, v25
	v_sub_f16_e32 v10, v12, v10
	v_lshrrev_b32_e32 v12, 16, v14
	v_add_f16_e32 v3, v25, v14
	v_add_f16_e32 v8, v16, v23
	v_sub_f16_e32 v9, v23, v16
	s_delay_alu instid0(VALU_DEP_4)
	v_add_f16_e32 v14, v1, v12
	v_sub_f16_e32 v1, v1, v12
	v_lshrrev_b32_e32 v12, 16, v16
	v_sub_f16_e32 v21, v3, v11
	v_sub_f16_e32 v23, v9, v6
	;; [unrolled: 1-line block ×3, first 2 shown]
	s_delay_alu instid0(VALU_DEP_4) | instskip(SKIP_4) | instid1(VALU_DEP_4)
	v_add_f16_e32 v16, v12, v7
	v_sub_f16_e32 v7, v7, v12
	v_add_f16_e32 v12, v3, v11
	v_sub_f16_e32 v11, v11, v8
	v_sub_f16_e32 v3, v8, v3
	v_add_f16_e32 v24, v7, v1
	s_delay_alu instid0(VALU_DEP_4)
	v_add_f16_e32 v8, v8, v12
	v_add_f16_e32 v12, v14, v20
	v_sub_f16_e32 v20, v20, v16
	v_sub_f16_e32 v14, v16, v14
	;; [unrolled: 1-line block ×4, first 2 shown]
	v_add_f16_e32 v12, v16, v12
	v_add_f16_e32 v16, v9, v6
	v_sub_f16_e32 v9, v18, v9
	v_sub_f16_e32 v6, v6, v18
	;; [unrolled: 1-line block ×3, first 2 shown]
	v_add_f16_e32 v10, v24, v10
	v_add_f16_e32 v16, v16, v18
	v_lshrrev_b32_e32 v18, 16, v19
	v_add_f16_e32 v19, v8, v19
	v_mul_f16_e32 v5, 0x3a52, v11
	v_mul_f16_e32 v11, 0x2b26, v3
	s_delay_alu instid0(VALU_DEP_3)
	v_and_b32_e32 v24, 0xffff, v19
	v_fmac_f16_e32 v19, 0xbcab, v8
	v_add_f16_e32 v8, v12, v18
	v_fmamk_f16 v3, v3, 0x2b26, v5
	v_fma_f16 v5, v21, 0xb9e0, -v5
	v_fma_f16 v11, v21, 0x39e0, -v11
	v_mul_f16_e32 v21, 0xbb00, v1
	v_lshlrev_b32_e32 v18, 16, v8
	v_fmac_f16_e32 v8, 0xbcab, v12
	v_mul_f16_e32 v12, 0xb846, v25
	v_add_f16_e32 v3, v3, v19
	v_fmac_f16_e32 v21, 0xb574, v7
	v_add_f16_e32 v11, v11, v19
	v_add_f16_e32 v5, v5, v19
	v_fmamk_f16 v7, v7, 0x3574, v12
	v_fma_f16 v1, v1, 0x3b00, -v12
	v_mul_f16_e32 v12, 0x3a52, v20
	v_mul_f16_e32 v20, 0x2b26, v14
	v_fmac_f16_e32 v21, 0x370e, v10
	v_fmac_f16_e32 v7, 0x370e, v10
	;; [unrolled: 1-line block ×3, first 2 shown]
	v_fmamk_f16 v14, v14, 0x2b26, v12
	v_fma_f16 v12, v22, 0xb9e0, -v12
	v_fma_f16 v20, v22, 0x39e0, -v20
	v_mul_f16_e32 v22, 0xb846, v23
	v_mul_f16_e32 v23, 0xbb00, v6
	v_add_f16_e32 v14, v14, v8
	v_add_f16_e32 v12, v12, v8
	;; [unrolled: 1-line block ×3, first 2 shown]
	v_fma_f16 v6, v6, 0x3b00, -v22
	v_fmac_f16_e32 v23, 0xb574, v9
	v_fmamk_f16 v9, v9, 0x3574, v22
	v_sub_f16_e32 v19, v11, v1
	v_add_f16_e32 v1, v1, v11
	v_fmac_f16_e32 v6, 0x370e, v16
	v_fmac_f16_e32 v23, 0x370e, v16
	v_fmac_f16_e32 v9, 0x370e, v16
	s_delay_alu instid0(VALU_DEP_3) | instskip(SKIP_2) | instid1(VALU_DEP_4)
	v_sub_f16_e32 v11, v8, v6
	v_add_f16_e32 v6, v6, v8
	v_sub_f16_e32 v8, v3, v7
	v_add_f16_e32 v10, v9, v14
	v_add_f16_e32 v3, v3, v7
	v_pack_b32_f16 v1, v1, v11
	v_add_f16_e32 v11, v23, v12
	v_pack_b32_f16 v6, v19, v6
	v_pack_b32_f16 v8, v8, v10
	v_sub_f16_e32 v10, v5, v21
	v_lshrrev_b32_e32 v7, 16, v4
	s_delay_alu instid0(VALU_DEP_2) | instskip(SKIP_1) | instid1(VALU_DEP_1)
	v_pack_b32_f16 v10, v10, v11
	v_mul_u32_u24_e32 v11, 7, v55
	v_lshlrev_b32_e32 v197, 2, v11
	ds_store_2addr_b32 v197, v6, v1 offset0:3 offset1:4
	ds_store_2addr_b32 v197, v10, v8 offset0:5 offset1:6
	v_add_f16_e32 v1, v21, v5
	v_sub_f16_e32 v5, v12, v23
	v_sub_f16_e32 v6, v14, v9
	v_add_f16_e32 v8, v4, v15
	v_lshrrev_b32_e32 v9, 16, v15
	v_lshrrev_b32_e32 v10, 16, v13
	v_pack_b32_f16 v1, v1, v5
	v_pack_b32_f16 v3, v3, v6
	v_or_b32_e32 v5, v18, v24
	v_sub_f16_e32 v6, v2, v17
	v_add_f16_e32 v11, v13, v48
	v_sub_f16_e32 v12, v13, v48
	ds_store_2addr_b32 v197, v3, v1 offset0:1 offset1:2
	ds_store_b32 v197, v5
	v_lshrrev_b32_e32 v1, 16, v17
	v_add_f16_e32 v3, v17, v2
	v_lshrrev_b32_e32 v2, 16, v2
	v_lshrrev_b32_e32 v13, 16, v48
	v_sub_f16_e32 v4, v4, v15
	v_sub_f16_e32 v15, v8, v11
	s_delay_alu instid0(VALU_DEP_3)
	v_add_f16_e32 v14, v10, v13
	v_sub_f16_e32 v10, v10, v13
	v_add_f16_e32 v13, v7, v9
	v_sub_f16_e32 v7, v7, v9
	;; [unrolled: 2-line block ×4, first 2 shown]
	v_sub_f16_e32 v8, v3, v8
	v_sub_f16_e32 v16, v13, v14
	;; [unrolled: 1-line block ×3, first 2 shown]
	v_add_f16_e32 v2, v3, v2
	v_add_f16_e32 v3, v13, v14
	v_sub_f16_e32 v14, v14, v9
	v_sub_f16_e32 v13, v9, v13
	v_add_f16_e32 v18, v1, v7
	v_sub_f16_e32 v19, v1, v7
	v_add_f16_e32 v3, v9, v3
	v_add_f16_e32 v9, v6, v4
	v_sub_f16_e32 v6, v12, v6
	v_sub_f16_e32 v4, v4, v12
	;; [unrolled: 1-line block ×4, first 2 shown]
	v_add_f16_e32 v9, v9, v12
	v_lshrrev_b32_e32 v12, 16, v0
	v_add_f16_e32 v0, v2, v0
	v_add_f16_e32 v10, v18, v10
	v_mul_f16_e32 v5, 0x2b26, v8
	s_delay_alu instid0(VALU_DEP_3) | instskip(SKIP_2) | instid1(VALU_DEP_4)
	v_and_b32_e32 v18, 0xffff, v0
	v_fmac_f16_e32 v0, 0xbcab, v2
	v_add_f16_e32 v2, v3, v12
	v_fma_f16 v5, v15, 0x39e0, -v5
	s_delay_alu instid0(VALU_DEP_2) | instskip(SKIP_3) | instid1(VALU_DEP_2)
	v_lshlrev_b32_e32 v12, 16, v2
	v_fmac_f16_e32 v2, 0xbcab, v3
	v_mul_f16_e32 v3, 0x3a52, v11
	v_mul_f16_e32 v11, 0xb846, v19
	v_fmamk_f16 v8, v8, 0x2b26, v3
	v_fma_f16 v3, v15, 0xb9e0, -v3
	v_mul_f16_e32 v15, 0xbb00, v7
	s_delay_alu instid0(VALU_DEP_4) | instskip(NEXT) | instid1(VALU_DEP_4)
	v_fma_f16 v7, v7, 0x3b00, -v11
	v_add_f16_e32 v8, v8, v0
	s_delay_alu instid0(VALU_DEP_4) | instskip(NEXT) | instid1(VALU_DEP_4)
	v_add_f16_e32 v3, v3, v0
	v_fmac_f16_e32 v15, 0xb574, v1
	v_fmamk_f16 v1, v1, 0x3574, v11
	v_mul_f16_e32 v11, 0x3a52, v14
	v_mul_f16_e32 v14, 0x2b26, v13
	v_add_f16_e32 v0, v5, v0
	v_fmac_f16_e32 v7, 0x370e, v10
	v_fmac_f16_e32 v1, 0x370e, v10
	v_fmamk_f16 v13, v13, 0x2b26, v11
	v_fma_f16 v11, v16, 0xb9e0, -v11
	v_fma_f16 v14, v16, 0x39e0, -v14
	v_mul_f16_e32 v16, 0xb846, v17
	v_mul_f16_e32 v17, 0xbb00, v4
	v_fmac_f16_e32 v15, 0x370e, v10
	v_add_f16_e32 v5, v11, v2
	v_add_f16_e32 v11, v13, v2
	v_fma_f16 v4, v4, 0x3b00, -v16
	v_fmac_f16_e32 v17, 0xb574, v6
	v_fmamk_f16 v6, v6, 0x3574, v16
	v_add_f16_e32 v2, v14, v2
	v_sub_f16_e32 v13, v0, v7
	v_fmac_f16_e32 v4, 0x370e, v9
	v_add_f16_e32 v0, v7, v0
	v_fmac_f16_e32 v6, 0x370e, v9
	v_fmac_f16_e32 v17, 0x370e, v9
	s_delay_alu instid0(VALU_DEP_4) | instskip(SKIP_2) | instid1(VALU_DEP_4)
	v_sub_f16_e32 v7, v2, v4
	v_add_f16_e32 v2, v4, v2
	v_sub_f16_e32 v4, v8, v1
	v_add_f16_e32 v9, v17, v5
	v_add_f16_e32 v1, v8, v1
	v_pack_b32_f16 v0, v0, v7
	v_add_f16_e32 v7, v6, v11
	v_pack_b32_f16 v2, v13, v2
	s_delay_alu instid0(VALU_DEP_2) | instskip(SKIP_1) | instid1(VALU_DEP_1)
	v_pack_b32_f16 v4, v4, v7
	v_sub_f16_e32 v7, v3, v15
	v_pack_b32_f16 v7, v7, v9
	v_mul_u32_u24_e32 v9, 7, v56
	s_delay_alu instid0(VALU_DEP_1)
	v_lshlrev_b32_e32 v102, 2, v9
	ds_store_2addr_b32 v102, v2, v0 offset0:3 offset1:4
	ds_store_2addr_b32 v102, v7, v4 offset0:5 offset1:6
	v_add_f16_e32 v0, v15, v3
	v_sub_f16_e32 v2, v5, v17
	v_sub_f16_e32 v3, v11, v6
	s_delay_alu instid0(VALU_DEP_2) | instskip(NEXT) | instid1(VALU_DEP_2)
	v_pack_b32_f16 v0, v0, v2
	v_pack_b32_f16 v1, v1, v3
	v_or_b32_e32 v2, v12, v18
	ds_store_2addr_b32 v102, v1, v0 offset0:1 offset1:2
	ds_store_b32 v102, v2
	v_and_b32_e32 v0, 0xff, v38
	s_waitcnt lgkmcnt(0)
	s_barrier
	buffer_gl0_inv
	v_mul_lo_u16 v0, v0, 37
	s_delay_alu instid0(VALU_DEP_1) | instskip(NEXT) | instid1(VALU_DEP_1)
	v_lshrrev_b16 v0, 8, v0
	v_sub_nc_u16 v1, v38, v0
	s_delay_alu instid0(VALU_DEP_1) | instskip(NEXT) | instid1(VALU_DEP_1)
	v_lshrrev_b16 v1, 1, v1
	v_and_b32_e32 v1, 0x7f, v1
	s_delay_alu instid0(VALU_DEP_1) | instskip(SKIP_1) | instid1(VALU_DEP_2)
	v_add_nc_u16 v0, v1, v0
	v_and_b32_e32 v1, 0xff, v78
	v_lshrrev_b16 v14, 2, v0
	s_delay_alu instid0(VALU_DEP_2) | instskip(NEXT) | instid1(VALU_DEP_2)
	v_mul_lo_u16 v1, v1, 37
	v_mul_lo_u16 v0, v14, 7
	s_delay_alu instid0(VALU_DEP_2) | instskip(NEXT) | instid1(VALU_DEP_2)
	v_lshrrev_b16 v1, 8, v1
	v_sub_nc_u16 v0, v38, v0
	s_delay_alu instid0(VALU_DEP_2) | instskip(NEXT) | instid1(VALU_DEP_2)
	v_sub_nc_u16 v2, v78, v1
	v_and_b32_e32 v21, 0xff, v0
	s_delay_alu instid0(VALU_DEP_2) | instskip(NEXT) | instid1(VALU_DEP_2)
	v_lshrrev_b16 v2, 1, v2
	v_mul_u32_u24_e32 v0, 6, v21
	s_delay_alu instid0(VALU_DEP_2) | instskip(NEXT) | instid1(VALU_DEP_2)
	v_and_b32_e32 v2, 0x7f, v2
	v_lshlrev_b32_e32 v0, 2, v0
	s_clause 0x1
	global_load_b64 v[236:237], v0, s[6:7] offset:16
	global_load_b128 v[94:97], v0, s[6:7]
	v_add_nc_u16 v15, v2, v1
	v_mul_lo_u16 v1, v57, 37
	ds_load_2addr_b32 v[4:5], v253 offset0:38 offset1:87
	ds_load_2addr_b32 v[7:8], v186 offset0:10 offset1:59
	;; [unrolled: 1-line block ×4, first 2 shown]
	v_lshrrev_b16 v1, 8, v1
	v_lshrrev_b16 v124, 2, v15
	s_delay_alu instid0(VALU_DEP_2) | instskip(NEXT) | instid1(VALU_DEP_1)
	v_sub_nc_u16 v2, v52, v1
	v_lshrrev_b16 v2, 1, v2
	s_delay_alu instid0(VALU_DEP_1) | instskip(SKIP_2) | instid1(VALU_DEP_2)
	v_and_b32_e32 v2, 0x7f, v2
	s_waitcnt lgkmcnt(3)
	v_lshrrev_b32_e32 v0, 16, v5
	v_add_nc_u16 v16, v2, v1
	v_mul_lo_u16 v1, v61, 37
	s_delay_alu instid0(VALU_DEP_2) | instskip(NEXT) | instid1(VALU_DEP_2)
	v_lshrrev_b16 v126, 2, v16
	v_lshrrev_b16 v1, 8, v1
	s_delay_alu instid0(VALU_DEP_1) | instskip(NEXT) | instid1(VALU_DEP_1)
	v_sub_nc_u16 v2, v53, v1
	v_lshrrev_b16 v2, 1, v2
	s_delay_alu instid0(VALU_DEP_1) | instskip(NEXT) | instid1(VALU_DEP_1)
	v_and_b32_e32 v2, 0x7f, v2
	v_add_nc_u16 v17, v2, v1
	v_mul_lo_u16 v1, v60, 37
	s_delay_alu instid0(VALU_DEP_2) | instskip(NEXT) | instid1(VALU_DEP_2)
	v_lshrrev_b16 v127, 2, v17
	v_lshrrev_b16 v1, 8, v1
	s_delay_alu instid0(VALU_DEP_1) | instskip(NEXT) | instid1(VALU_DEP_1)
	v_sub_nc_u16 v2, v54, v1
	v_lshrrev_b16 v2, 1, v2
	s_delay_alu instid0(VALU_DEP_1) | instskip(NEXT) | instid1(VALU_DEP_1)
	v_and_b32_e32 v2, 0x7f, v2
	v_add_nc_u16 v18, v2, v1
	v_mul_u32_u24_e32 v1, 0x2493, v59
	s_delay_alu instid0(VALU_DEP_1) | instskip(NEXT) | instid1(VALU_DEP_1)
	v_lshrrev_b32_e32 v1, 16, v1
	v_sub_nc_u16 v2, v55, v1
	s_delay_alu instid0(VALU_DEP_1) | instskip(NEXT) | instid1(VALU_DEP_1)
	v_lshrrev_b16 v2, 1, v2
	v_add_nc_u16 v19, v2, v1
	v_mul_u32_u24_e32 v1, 0x2493, v58
	s_delay_alu instid0(VALU_DEP_2) | instskip(NEXT) | instid1(VALU_DEP_2)
	v_lshrrev_b16 v72, 2, v19
	v_lshrrev_b32_e32 v1, 16, v1
	s_delay_alu instid0(VALU_DEP_1) | instskip(NEXT) | instid1(VALU_DEP_1)
	v_sub_nc_u16 v2, v56, v1
	v_lshrrev_b16 v2, 1, v2
	s_delay_alu instid0(VALU_DEP_1)
	v_add_nc_u16 v20, v2, v1
	s_waitcnt vmcnt(1)
	v_lshrrev_b32_e32 v6, 16, v237
	s_waitcnt vmcnt(0)
	v_lshrrev_b32_e32 v2, 16, v94
	s_waitcnt lgkmcnt(2)
	s_delay_alu instid0(VALU_DEP_2) | instskip(NEXT) | instid1(VALU_DEP_2)
	v_mul_f16_e32 v3, v7, v6
	v_mul_f16_e32 v1, v5, v2
	s_delay_alu instid0(VALU_DEP_1) | instskip(SKIP_2) | instid1(VALU_DEP_2)
	v_fmac_f16_e32 v1, v0, v94
	v_mul_f16_e32 v0, v0, v2
	v_lshrrev_b32_e32 v2, 16, v7
	v_fma_f16 v0, v5, v94, -v0
	s_delay_alu instid0(VALU_DEP_2)
	v_fmac_f16_e64 v3, v2, v237
	v_mul_f16_e32 v2, v2, v6
	ds_load_2addr_b32 v[5:6], v195 offset0:130 offset1:179
	v_add_f16_e32 v65, v1, v3
	v_fma_f16 v2, v7, v237, -v2
	v_sub_f16_e32 v64, v1, v3
	v_lshrrev_b32_e32 v7, 16, v236
	s_delay_alu instid0(VALU_DEP_3) | instskip(SKIP_4) | instid1(VALU_DEP_2)
	v_add_f16_e32 v62, v0, v2
	v_sub_f16_e32 v63, v0, v2
	v_lshrrev_b32_e32 v2, 16, v95
	s_waitcnt lgkmcnt(2)
	v_lshrrev_b32_e32 v0, 16, v9
	v_mul_f16_e32 v1, v9, v2
	s_waitcnt lgkmcnt(0)
	v_mul_f16_e32 v3, v6, v7
	s_delay_alu instid0(VALU_DEP_2) | instskip(SKIP_2) | instid1(VALU_DEP_2)
	v_fmac_f16_e32 v1, v0, v95
	v_mul_f16_e32 v0, v0, v2
	v_lshrrev_b32_e32 v2, 16, v6
	v_fma_f16 v0, v9, v95, -v0
	s_delay_alu instid0(VALU_DEP_2) | instskip(SKIP_2) | instid1(VALU_DEP_3)
	v_fmac_f16_e64 v3, v2, v236
	v_mul_f16_e32 v2, v2, v7
	v_lshrrev_b32_e32 v9, 16, v97
	v_add_f16_e32 v69, v1, v3
	s_delay_alu instid0(VALU_DEP_3)
	v_fma_f16 v2, v6, v236, -v2
	ds_load_2addr_b32 v[6:7], v99 offset0:84 offset1:133
	v_sub_f16_e32 v68, v1, v3
	v_lshrrev_b32_e32 v1, 16, v96
	v_mul_f16_e32 v3, v12, v9
	v_add_f16_e32 v66, v0, v2
	v_sub_f16_e32 v67, v0, v2
	s_waitcnt lgkmcnt(0)
	v_lshrrev_b32_e32 v0, 16, v7
	v_mul_f16_e32 v2, v7, v1
	s_delay_alu instid0(VALU_DEP_1) | instskip(SKIP_2) | instid1(VALU_DEP_2)
	v_fmac_f16_e32 v2, v0, v96
	v_mul_f16_e32 v0, v0, v1
	v_lshrrev_b32_e32 v1, 16, v12
	v_fma_f16 v7, v7, v96, -v0
	s_delay_alu instid0(VALU_DEP_2) | instskip(SKIP_1) | instid1(VALU_DEP_1)
	v_fmac_f16_e32 v3, v1, v97
	v_mul_f16_e32 v1, v1, v9
	v_fma_f16 v1, v12, v97, -v1
	ds_load_2addr_b32 v[11:12], v251 offset1:49
	v_add_f16_e32 v0, v7, v1
	v_sub_f16_e32 v9, v1, v7
	v_add_f16_e32 v1, v2, v3
	v_sub_f16_e32 v7, v3, v2
	;; [unrolled: 2-line block ×3, first 2 shown]
	v_sub_f16_e32 v111, v63, v9
	v_sub_f16_e32 v110, v1, v69
	;; [unrolled: 1-line block ×3, first 2 shown]
	v_add_f16_e32 v3, v0, v2
	s_waitcnt lgkmcnt(0)
	s_delay_alu instid0(VALU_DEP_1) | instskip(NEXT) | instid1(VALU_DEP_1)
	v_add_f16_e32 v70, v3, v11
	v_and_b32_e32 v2, 0xffff, v70
	v_fmac_f16_e32 v70, 0xbcab, v3
	v_add_f16_e32 v3, v69, v65
	s_delay_alu instid0(VALU_DEP_1) | instskip(SKIP_2) | instid1(VALU_DEP_2)
	v_add_f16_e32 v22, v1, v3
	v_lshrrev_b32_e32 v3, 16, v11
	v_sub_f16_e32 v11, v7, v68
	v_add_f16_e32 v71, v22, v3
	s_delay_alu instid0(VALU_DEP_2) | instskip(NEXT) | instid1(VALU_DEP_2)
	v_mul_f16_e32 v117, 0xb846, v11
	v_lshlrev_b32_e32 v3, 16, v71
	v_fmac_f16_e32 v71, 0xbcab, v22
	s_delay_alu instid0(VALU_DEP_3) | instskip(NEXT) | instid1(VALU_DEP_3)
	v_fmamk_f16 v121, v112, 0x3574, v117
	v_or_b32_e32 v93, v3, v2
	v_and_b32_e32 v2, 0xffff, v14
	v_sub_f16_e32 v3, v9, v67
	s_delay_alu instid0(VALU_DEP_2) | instskip(NEXT) | instid1(VALU_DEP_2)
	v_mul_u32_u24_e32 v2, 49, v2
	v_mul_f16_e32 v116, 0xb846, v3
	s_delay_alu instid0(VALU_DEP_2)
	v_add_lshl_u32 v205, v2, v21, 2
	v_sub_f16_e32 v2, v62, v0
	v_sub_f16_e32 v0, v65, v1
	v_add_f16_e32 v1, v9, v67
	v_add_f16_e32 v9, v7, v68
	v_fmamk_f16 v122, v111, 0x3574, v116
	v_mul_f16_e32 v114, 0x3a52, v2
	v_mul_f16_e32 v115, 0x3a52, v0
	v_add_f16_e32 v113, v1, v63
	v_add_f16_e32 v118, v9, v64
	v_mul_lo_u16 v2, v127, 7
	v_fmamk_f16 v0, v109, 0x2b26, v114
	v_lshrrev_b16 v7, 2, v20
	v_fmac_f16_e32 v122, 0x370e, v113
	v_fmac_f16_e32 v121, 0x370e, v118
	v_sub_nc_u16 v2, v53, v2
	v_add_f16_e32 v119, v0, v70
	v_fmamk_f16 v0, v110, 0x2b26, v115
	v_sub_f16_e32 v63, v67, v63
	v_sub_f16_e32 v64, v68, v64
	v_and_b32_e32 v129, 0xff, v2
	v_mul_lo_u16 v2, v72, 7
	v_add_f16_e32 v120, v0, v71
	v_add_f16_e32 v0, v121, v119
	v_sub_f16_e32 v62, v66, v62
	v_sub_f16_e32 v65, v69, v65
	v_sub_nc_u16 v73, v55, v2
	v_sub_f16_e32 v1, v120, v122
	v_mul_lo_u16 v2, v7, 7
	v_mul_f16_e32 v66, 0x2b26, v109
	v_mul_f16_e32 v67, 0x2b26, v110
	v_fma_f16 v68, v63, 0x3b00, -v116
	v_pack_b32_f16 v123, v0, v1
	v_mul_lo_u16 v0, v124, 7
	v_mul_lo_u16 v1, v126, 7
	v_sub_nc_u16 v9, v56, v2
	v_mul_lo_u16 v2, v73, 6
	v_mul_f16_e32 v63, 0xbb00, v63
	v_sub_nc_u16 v0, v78, v0
	v_sub_nc_u16 v1, v52, v1
	v_fma_f16 v69, v64, 0x3b00, -v117
	v_and_b32_e32 v2, 0xffff, v2
	v_mul_f16_e32 v64, 0xbb00, v64
	v_and_b32_e32 v125, 0xff, v0
	v_and_b32_e32 v128, 0xff, v1
	v_fma_f16 v66, v62, 0x39e0, -v66
	v_lshlrev_b32_e32 v20, 2, v2
	v_fma_f16 v62, v62, 0xb9e0, -v114
	v_mul_u32_u24_e32 v0, 6, v125
	v_mul_u32_u24_e32 v11, 6, v128
	v_fma_f16 v67, v65, 0x39e0, -v67
	v_fma_f16 v65, v65, 0xb9e0, -v115
	v_fmac_f16_e32 v63, 0xb574, v111
	v_lshlrev_b32_e32 v16, 2, v0
	v_lshrrev_b16 v0, 2, v18
	v_lshlrev_b32_e32 v17, 2, v11
	v_mul_u32_u24_e32 v11, 6, v129
	v_fmac_f16_e32 v64, 0xb574, v112
	v_add_f16_e32 v62, v62, v70
	v_mul_lo_u16 v3, v0, 7
	v_add_f16_e32 v65, v65, v71
	v_lshlrev_b32_e32 v18, 2, v11
	v_fmac_f16_e32 v63, 0x370e, v113
	v_fmac_f16_e32 v64, 0x370e, v118
	v_sub_nc_u16 v3, v54, v3
	v_add_f16_e32 v66, v66, v70
	v_add_f16_e32 v67, v67, v71
	v_fmac_f16_e32 v68, 0x370e, v113
	v_fmac_f16_e32 v69, 0x370e, v118
	v_and_b32_e32 v1, 0xff, v3
	v_mul_lo_u16 v3, v9, 6
	v_add_f16_e32 v70, v64, v62
	v_sub_f16_e32 v71, v65, v63
	v_sub_f16_e32 v62, v62, v64
	v_mul_u32_u24_e32 v11, 6, v1
	v_and_b32_e32 v3, 0xffff, v3
	v_add_f16_e32 v63, v63, v65
	v_pack_b32_f16 v70, v70, v71
	v_sub_f16_e32 v71, v66, v69
	v_lshlrev_b32_e32 v19, 2, v11
	v_lshlrev_b32_e32 v130, 2, v3
	ds_load_b32 v11, v251 offset:9408
	ds_load_2addr_b32 v[2:3], v253 offset0:136 offset1:185
	ds_load_2addr_b32 v[74:75], v207 offset0:54 offset1:103
	;; [unrolled: 1-line block ×17, first 2 shown]
	s_clause 0xb
	global_load_b64 v[161:162], v17, s[6:7] offset:16
	global_load_b64 v[168:169], v18, s[6:7] offset:16
	;; [unrolled: 1-line block ×6, first 2 shown]
	global_load_b128 v[36:39], v16, s[6:7]
	global_load_b128 v[32:35], v17, s[6:7]
	;; [unrolled: 1-line block ×6, first 2 shown]
	s_waitcnt vmcnt(0) lgkmcnt(0)
	s_barrier
	buffer_gl0_inv
	ds_store_2addr_b32 v205, v93, v123 offset1:7
	v_add_f16_e32 v93, v68, v67
	v_add_f16_e32 v66, v69, v66
	v_sub_f16_e32 v67, v67, v68
	v_pack_b32_f16 v62, v62, v63
	v_and_b32_e32 v0, 0xffff, v0
	v_pack_b32_f16 v71, v71, v93
	s_delay_alu instid0(VALU_DEP_4) | instskip(SKIP_1) | instid1(VALU_DEP_4)
	v_pack_b32_f16 v64, v66, v67
	v_lshrrev_b32_e32 v66, 16, v8
	v_mul_u32_u24_e32 v0, 49, v0
	ds_store_2addr_b32 v205, v70, v71 offset0:14 offset1:21
	ds_store_2addr_b32 v205, v64, v62 offset0:28 offset1:35
	v_lshrrev_b32_e32 v62, 16, v10
	v_lshrrev_b32_e32 v64, 16, v13
	v_add_lshl_u32 v180, v0, v1, 2
	v_lshrrev_b32_e32 v16, 16, v37
	s_delay_alu instid0(VALU_DEP_1) | instskip(SKIP_3) | instid1(VALU_DEP_4)
	v_mul_f16_e32 v63, v62, v16
	v_lshrrev_b32_e32 v252, 16, v85
	v_lshrrev_b32_e32 v226, 16, v83
	v_lshrrev_b32_e32 v246, 16, v84
	v_fma_f16 v63, v10, v37, -v63
	v_mul_f16_e32 v10, v10, v16
	v_lshrrev_b32_e32 v16, 16, v39
	s_delay_alu instid0(VALU_DEP_2) | instskip(NEXT) | instid1(VALU_DEP_2)
	v_fmac_f16_e32 v10, v62, v37
	v_mul_f16_e32 v65, v64, v16
	v_sub_f16_e32 v62, v119, v121
	s_delay_alu instid0(VALU_DEP_2) | instskip(SKIP_2) | instid1(VALU_DEP_2)
	v_fma_f16 v65, v13, v39, -v65
	v_mul_f16_e32 v13, v13, v16
	v_lshrrev_b32_e32 v16, 16, v157
	v_fmac_f16_e32 v13, v64, v39
	s_delay_alu instid0(VALU_DEP_2) | instskip(SKIP_1) | instid1(VALU_DEP_2)
	v_mul_f16_e32 v67, v66, v16
	v_add_f16_e32 v64, v122, v120
	v_fma_f16 v67, v8, v157, -v67
	v_mul_f16_e32 v8, v8, v16
	v_lshrrev_b32_e32 v16, 16, v36
	s_delay_alu instid0(VALU_DEP_4) | instskip(SKIP_1) | instid1(VALU_DEP_4)
	v_pack_b32_f16 v62, v62, v64
	v_and_b32_e32 v64, 0xffff, v124
	v_fmac_f16_e64 v8, v66, v157
	v_lshrrev_b32_e32 v66, 16, v2
	v_mul_f16_e32 v68, v2, v16
	s_delay_alu instid0(VALU_DEP_4) | instskip(NEXT) | instid1(VALU_DEP_2)
	v_mul_u32_u24_e32 v64, 49, v64
	v_fmac_f16_e32 v68, v66, v36
	v_mul_f16_e32 v66, v66, v16
	v_lshrrev_b32_e32 v16, 16, v156
	s_delay_alu instid0(VALU_DEP_4) | instskip(NEXT) | instid1(VALU_DEP_3)
	v_add_lshl_u32 v228, v64, v125, 2
	v_fma_f16 v2, v2, v36, -v66
	s_delay_alu instid0(VALU_DEP_3) | instskip(NEXT) | instid1(VALU_DEP_2)
	v_mul_f16_e32 v69, v76, v16
	v_add_f16_e32 v66, v2, v67
	v_sub_f16_e32 v2, v2, v67
	v_add_f16_e32 v67, v68, v8
	v_sub_f16_e32 v8, v68, v8
	v_lshrrev_b32_e32 v68, 16, v76
	s_delay_alu instid0(VALU_DEP_1) | instskip(SKIP_2) | instid1(VALU_DEP_2)
	v_fmac_f16_e64 v69, v68, v156
	v_mul_f16_e32 v68, v68, v16
	v_lshrrev_b32_e32 v16, 16, v38
	v_fma_f16 v68, v76, v156, -v68
	s_delay_alu instid0(VALU_DEP_2) | instskip(SKIP_1) | instid1(VALU_DEP_3)
	v_mul_f16_e32 v71, v74, v16
	v_lshrrev_b32_e32 v76, 16, v12
	v_add_f16_e32 v70, v63, v68
	v_sub_f16_e32 v63, v63, v68
	v_add_f16_e32 v68, v10, v69
	v_sub_f16_e32 v10, v10, v69
	v_lshrrev_b32_e32 v69, 16, v74
	s_delay_alu instid0(VALU_DEP_3) | instskip(NEXT) | instid1(VALU_DEP_2)
	v_add_f16_e32 v93, v68, v67
	v_fmac_f16_e32 v71, v69, v38
	v_mul_f16_e32 v69, v69, v16
	v_lshrrev_b32_e32 v16, 16, v161
	s_delay_alu instid0(VALU_DEP_2) | instskip(NEXT) | instid1(VALU_DEP_1)
	v_fma_f16 v69, v74, v38, -v69
	v_add_f16_e32 v74, v69, v65
	v_sub_f16_e32 v65, v65, v69
	v_add_f16_e32 v69, v71, v13
	v_sub_f16_e32 v13, v13, v71
	v_add_f16_e32 v71, v70, v66
	v_sub_f16_e32 v64, v66, v74
	s_delay_alu instid0(VALU_DEP_4) | instskip(NEXT) | instid1(VALU_DEP_4)
	v_add_f16_e32 v93, v69, v93
	v_sub_f16_e32 v112, v13, v10
	s_delay_alu instid0(VALU_DEP_4)
	v_add_f16_e32 v71, v74, v71
	v_add_f16_e32 v111, v13, v10
	v_sub_f16_e32 v13, v8, v13
	v_add_f16_e32 v76, v93, v76
	v_mul_f16_e32 v64, 0x3a52, v64
	v_add_f16_e32 v12, v71, v12
	v_mul_f16_e32 v112, 0xb846, v112
	v_add_f16_e32 v111, v111, v8
	v_lshlrev_b32_e32 v109, 16, v76
	v_fmac_f16_e32 v76, 0xbcab, v93
	v_and_b32_e32 v110, 0xffff, v12
	v_fmac_f16_e32 v12, 0xbcab, v71
	v_sub_f16_e32 v71, v74, v70
	v_sub_f16_e32 v74, v67, v69
	;; [unrolled: 1-line block ×3, first 2 shown]
	v_or_b32_e32 v109, v109, v110
	v_sub_f16_e32 v110, v65, v63
	v_add_f16_e32 v93, v65, v63
	v_sub_f16_e32 v65, v2, v65
	v_mul_f16_e32 v74, 0x3a52, v74
	v_fmamk_f16 v113, v71, 0x2b26, v64
	v_mul_f16_e32 v110, 0xb846, v110
	v_add_f16_e32 v93, v93, v2
	v_fmamk_f16 v115, v13, 0x3574, v112
	v_fmamk_f16 v114, v69, 0x2b26, v74
	v_add_f16_e32 v113, v113, v12
	v_fmamk_f16 v116, v65, 0x3574, v110
	v_sub_f16_e32 v2, v63, v2
	v_fmac_f16_e32 v115, 0x370e, v111
	v_add_f16_e32 v114, v114, v76
	v_sub_f16_e32 v8, v10, v8
	v_fmac_f16_e32 v116, 0x370e, v93
	v_mul_f16_e32 v10, 0x2b26, v71
	v_add_f16_e32 v117, v115, v113
	v_mul_f16_e32 v63, 0x2b26, v69
	s_delay_alu instid0(VALU_DEP_4) | instskip(NEXT) | instid1(VALU_DEP_1)
	v_sub_f16_e32 v118, v114, v116
	v_pack_b32_f16 v117, v117, v118
	ds_store_b32 v205, v62 offset:168
	ds_store_2addr_b32 v228, v109, v117 offset1:7
	v_sub_f16_e32 v62, v70, v66
	v_sub_f16_e32 v66, v68, v67
	s_delay_alu instid0(VALU_DEP_2) | instskip(SKIP_1) | instid1(VALU_DEP_3)
	v_fma_f16 v10, v62, 0x39e0, -v10
	v_fma_f16 v62, v62, 0xb9e0, -v64
	;; [unrolled: 1-line block ×5, first 2 shown]
	v_mul_f16_e32 v2, 0xbb00, v2
	v_add_f16_e32 v10, v10, v12
	v_add_f16_e32 v12, v62, v12
	;; [unrolled: 1-line block ×3, first 2 shown]
	v_fmac_f16_e32 v66, 0x370e, v93
	v_fmac_f16_e32 v2, 0xb574, v65
	v_fma_f16 v65, v8, 0x3b00, -v112
	v_mul_f16_e32 v8, 0xbb00, v8
	v_lshrrev_b32_e32 v74, 16, v79
	s_delay_alu instid0(VALU_DEP_4) | instskip(NEXT) | instid1(VALU_DEP_4)
	v_fmac_f16_e32 v2, 0x370e, v93
	v_fmac_f16_e32 v65, 0x370e, v111
	s_delay_alu instid0(VALU_DEP_4) | instskip(SKIP_1) | instid1(VALU_DEP_4)
	v_fmac_f16_e32 v8, 0xb574, v13
	v_add_f16_e32 v13, v63, v76
	v_sub_f16_e32 v64, v62, v2
	v_add_f16_e32 v2, v2, v62
	s_delay_alu instid0(VALU_DEP_4) | instskip(NEXT) | instid1(VALU_DEP_4)
	v_fmac_f16_e32 v8, 0x370e, v111
	v_add_f16_e32 v67, v66, v13
	v_sub_f16_e32 v13, v13, v66
	v_lshrrev_b32_e32 v62, 16, v77
	s_delay_alu instid0(VALU_DEP_4) | instskip(SKIP_1) | instid1(VALU_DEP_2)
	v_add_f16_e32 v63, v8, v12
	v_sub_f16_e32 v8, v12, v8
	v_pack_b32_f16 v63, v63, v64
	v_sub_f16_e32 v64, v10, v65
	v_add_f16_e32 v10, v65, v10
	s_delay_alu instid0(VALU_DEP_4) | instskip(NEXT) | instid1(VALU_DEP_3)
	v_pack_b32_f16 v2, v8, v2
	v_pack_b32_f16 v64, v64, v67
	s_delay_alu instid0(VALU_DEP_3)
	v_pack_b32_f16 v10, v10, v13
	v_lshrrev_b32_e32 v13, 16, v34
	ds_store_2addr_b32 v228, v63, v64 offset0:14 offset1:21
	ds_store_2addr_b32 v228, v10, v2 offset0:28 offset1:35
	v_lshrrev_b32_e32 v2, 16, v3
	v_lshrrev_b32_e32 v10, 16, v32
	v_mul_f16_e32 v63, v62, v16
	v_mul_f16_e32 v64, v77, v16
	v_lshrrev_b32_e32 v16, 16, v162
	s_delay_alu instid0(VALU_DEP_4) | instskip(NEXT) | instid1(VALU_DEP_4)
	v_mul_f16_e32 v8, v2, v10
	v_fma_f16 v63, v77, v161, -v63
	s_delay_alu instid0(VALU_DEP_4)
	v_fmac_f16_e64 v64, v62, v161
	v_lshrrev_b32_e32 v62, 16, v91
	v_mul_f16_e32 v65, v91, v16
	v_fma_f16 v8, v3, v32, -v8
	v_mul_f16_e32 v3, v3, v10
	v_lshrrev_b32_e32 v10, 16, v75
	s_delay_alu instid0(VALU_DEP_4) | instskip(SKIP_1) | instid1(VALU_DEP_4)
	v_fmac_f16_e64 v65, v62, v162
	v_mul_f16_e32 v62, v62, v16
	v_fmac_f16_e32 v3, v2, v32
	v_lshrrev_b32_e32 v16, 16, v33
	v_mul_f16_e32 v12, v10, v13
	v_mul_f16_e32 v13, v75, v13
	v_fma_f16 v62, v91, v162, -v62
	v_sub_f16_e32 v2, v113, v115
	v_mul_f16_e32 v67, v87, v16
	v_fma_f16 v12, v75, v34, -v12
	v_fmac_f16_e32 v13, v10, v34
	v_add_f16_e32 v66, v8, v62
	v_sub_f16_e32 v8, v8, v62
	v_add_f16_e32 v62, v3, v65
	v_sub_f16_e32 v3, v3, v65
	v_lshrrev_b32_e32 v65, 16, v87
	v_add_f16_e32 v10, v116, v114
	s_delay_alu instid0(VALU_DEP_2) | instskip(SKIP_2) | instid1(VALU_DEP_4)
	v_fmac_f16_e32 v67, v65, v33
	v_mul_f16_e32 v65, v65, v16
	v_lshrrev_b32_e32 v16, 16, v35
	v_pack_b32_f16 v2, v2, v10
	v_and_b32_e32 v10, 0xffff, v126
	s_delay_alu instid0(VALU_DEP_4) | instskip(NEXT) | instid1(VALU_DEP_4)
	v_fma_f16 v65, v87, v33, -v65
	v_mul_f16_e32 v69, v89, v16
	s_delay_alu instid0(VALU_DEP_3) | instskip(NEXT) | instid1(VALU_DEP_3)
	v_mul_u32_u24_e32 v10, 49, v10
	v_add_f16_e32 v68, v65, v63
	v_sub_f16_e32 v63, v65, v63
	v_add_f16_e32 v65, v67, v64
	v_sub_f16_e32 v64, v67, v64
	v_lshrrev_b32_e32 v67, 16, v89
	v_add_lshl_u32 v239, v10, v128, 2
	s_delay_alu instid0(VALU_DEP_4) | instskip(NEXT) | instid1(VALU_DEP_3)
	v_add_f16_e32 v71, v65, v62
	v_fmac_f16_e32 v69, v67, v35
	v_mul_f16_e32 v67, v67, v16
	v_lshrrev_b32_e32 v16, 16, v169
	s_delay_alu instid0(VALU_DEP_2) | instskip(NEXT) | instid1(VALU_DEP_1)
	v_fma_f16 v67, v89, v35, -v67
	v_add_f16_e32 v70, v12, v67
	v_sub_f16_e32 v12, v67, v12
	v_add_f16_e32 v67, v13, v69
	v_sub_f16_e32 v13, v69, v13
	;; [unrolled: 2-line block ×3, first 2 shown]
	s_delay_alu instid0(VALU_DEP_4) | instskip(NEXT) | instid1(VALU_DEP_4)
	v_add_f16_e32 v71, v67, v71
	v_sub_f16_e32 v87, v13, v64
	s_delay_alu instid0(VALU_DEP_4) | instskip(NEXT) | instid1(VALU_DEP_4)
	v_add_f16_e32 v69, v70, v69
	v_mul_f16_e32 v10, 0x3a52, v10
	s_delay_alu instid0(VALU_DEP_4) | instskip(NEXT) | instid1(VALU_DEP_4)
	v_add_f16_e32 v74, v71, v74
	v_mul_f16_e32 v87, 0xb846, v87
	s_delay_alu instid0(VALU_DEP_4)
	v_add_f16_e32 v75, v69, v79
	v_add_f16_e32 v79, v13, v64
	v_sub_f16_e32 v13, v3, v13
	v_lshlrev_b32_e32 v76, 16, v74
	v_fmac_f16_e32 v74, 0xbcab, v71
	v_and_b32_e32 v77, 0xffff, v75
	v_fmac_f16_e32 v75, 0xbcab, v69
	v_sub_f16_e32 v69, v70, v68
	v_sub_f16_e32 v70, v62, v67
	;; [unrolled: 1-line block ×3, first 2 shown]
	v_or_b32_e32 v76, v76, v77
	v_sub_f16_e32 v77, v12, v63
	v_add_f16_e32 v71, v12, v63
	v_sub_f16_e32 v12, v8, v12
	v_mul_f16_e32 v70, 0x3a52, v70
	v_add_f16_e32 v79, v79, v3
	v_mul_f16_e32 v77, 0xb846, v77
	v_add_f16_e32 v71, v71, v8
	v_fmamk_f16 v89, v69, 0x2b26, v10
	v_fmamk_f16 v91, v67, 0x2b26, v70
	;; [unrolled: 1-line block ×4, first 2 shown]
	v_sub_f16_e32 v8, v63, v8
	v_add_f16_e32 v89, v89, v75
	v_add_f16_e32 v91, v91, v74
	v_fmac_f16_e32 v93, 0x370e, v79
	v_fmac_f16_e32 v109, 0x370e, v71
	v_sub_f16_e32 v3, v64, v3
	v_mul_f16_e32 v63, 0x2b26, v69
	v_fma_f16 v64, v8, 0x3b00, -v77
	v_add_f16_e32 v110, v93, v89
	v_sub_f16_e32 v111, v91, v109
	v_mul_f16_e32 v8, 0xbb00, v8
	v_sub_f16_e32 v62, v65, v62
	v_fmac_f16_e32 v64, 0x370e, v71
	s_delay_alu instid0(VALU_DEP_4)
	v_pack_b32_f16 v110, v110, v111
	ds_store_b32 v228, v2 offset:168
	ds_store_2addr_b32 v239, v76, v110 offset1:7
	v_sub_f16_e32 v2, v68, v66
	v_fmac_f16_e32 v8, 0xb574, v12
	v_fma_f16 v12, v3, 0x3b00, -v87
	v_mul_f16_e32 v3, 0xbb00, v3
	s_delay_alu instid0(VALU_DEP_4) | instskip(SKIP_2) | instid1(VALU_DEP_4)
	v_fma_f16 v63, v2, 0x39e0, -v63
	v_fma_f16 v2, v2, 0xb9e0, -v10
	v_mul_f16_e32 v10, 0x2b26, v67
	v_fmac_f16_e32 v3, 0xb574, v13
	v_fmac_f16_e32 v8, 0x370e, v71
	v_add_f16_e32 v13, v63, v75
	v_add_f16_e32 v2, v2, v75
	v_fma_f16 v10, v62, 0x39e0, -v10
	v_fma_f16 v62, v62, 0xb9e0, -v70
	v_fmac_f16_e32 v3, 0x370e, v79
	v_fmac_f16_e32 v12, 0x370e, v79
	v_lshrrev_b32_e32 v71, 16, v80
	v_add_f16_e32 v10, v10, v74
	v_add_f16_e32 v62, v62, v74
	;; [unrolled: 1-line block ×3, first 2 shown]
	v_sub_f16_e32 v2, v2, v3
	s_delay_alu instid0(VALU_DEP_4) | instskip(NEXT) | instid1(VALU_DEP_4)
	v_add_f16_e32 v66, v64, v10
	v_sub_f16_e32 v65, v62, v8
	v_add_f16_e32 v3, v8, v62
	v_lshrrev_b32_e32 v62, 16, v92
	v_sub_f16_e32 v10, v10, v64
	v_mul_f16_e32 v64, v92, v16
	v_pack_b32_f16 v63, v63, v65
	v_sub_f16_e32 v65, v13, v12
	v_add_f16_e32 v12, v12, v13
	v_pack_b32_f16 v2, v2, v3
	v_fmac_f16_e64 v64, v62, v169
	v_lshrrev_b32_e32 v13, 16, v31
	v_pack_b32_f16 v65, v65, v66
	v_pack_b32_f16 v8, v12, v10
	v_lshrrev_b32_e32 v10, 16, v90
	ds_store_2addr_b32 v239, v63, v65 offset0:14 offset1:21
	v_mul_f16_e32 v63, v62, v16
	v_lshrrev_b32_e32 v16, 16, v28
	v_lshrrev_b32_e32 v62, 16, v103
	ds_store_2addr_b32 v239, v8, v2 offset0:28 offset1:35
	v_lshrrev_b32_e32 v2, 16, v88
	v_fma_f16 v63, v92, v169, -v63
	v_mul_f16_e32 v65, v103, v16
	v_lshrrev_b32_e32 v8, 16, v29
	v_mul_f16_e32 v12, v10, v13
	v_mul_f16_e32 v13, v90, v13
	s_delay_alu instid0(VALU_DEP_4)
	v_fmac_f16_e32 v65, v62, v28
	v_mul_f16_e32 v62, v62, v16
	v_lshrrev_b32_e32 v16, 16, v168
	v_mul_f16_e32 v3, v2, v8
	v_mul_f16_e32 v8, v88, v8
	v_fma_f16 v12, v90, v31, -v12
	v_fma_f16 v62, v103, v28, -v62
	v_mul_f16_e32 v67, v107, v16
	v_fma_f16 v3, v88, v29, -v3
	v_fmac_f16_e32 v8, v2, v29
	v_fmac_f16_e32 v13, v10, v31
	v_add_f16_e32 v66, v62, v63
	v_sub_f16_e32 v62, v62, v63
	v_add_f16_e32 v63, v65, v64
	v_sub_f16_e32 v64, v65, v64
	v_lshrrev_b32_e32 v65, 16, v107
	v_sub_f16_e32 v2, v89, v93
	v_add_f16_e32 v10, v109, v91
	s_delay_alu instid0(VALU_DEP_3) | instskip(SKIP_2) | instid1(VALU_DEP_4)
	v_fmac_f16_e64 v67, v65, v168
	v_mul_f16_e32 v65, v65, v16
	v_lshrrev_b32_e32 v16, 16, v30
	v_pack_b32_f16 v2, v2, v10
	v_and_b32_e32 v10, 0xffff, v127
	s_delay_alu instid0(VALU_DEP_4) | instskip(NEXT) | instid1(VALU_DEP_4)
	v_fma_f16 v65, v107, v168, -v65
	v_mul_f16_e32 v69, v105, v16
	s_delay_alu instid0(VALU_DEP_3) | instskip(NEXT) | instid1(VALU_DEP_3)
	v_mul_u32_u24_e32 v10, 49, v10
	v_add_f16_e32 v68, v3, v65
	v_sub_f16_e32 v3, v3, v65
	v_add_f16_e32 v65, v8, v67
	v_sub_f16_e32 v8, v8, v67
	v_lshrrev_b32_e32 v67, 16, v105
	v_add_lshl_u32 v254, v10, v129, 2
	s_delay_alu instid0(VALU_DEP_4) | instskip(NEXT) | instid1(VALU_DEP_3)
	v_add_f16_e32 v75, v65, v63
	v_fmac_f16_e32 v69, v67, v30
	v_mul_f16_e32 v67, v67, v16
	v_lshrrev_b32_e32 v16, 16, v170
	s_delay_alu instid0(VALU_DEP_2) | instskip(NEXT) | instid1(VALU_DEP_1)
	v_fma_f16 v67, v105, v30, -v67
	v_add_f16_e32 v70, v67, v12
	v_sub_f16_e32 v12, v12, v67
	v_add_f16_e32 v67, v69, v13
	v_sub_f16_e32 v13, v13, v69
	;; [unrolled: 2-line block ×3, first 2 shown]
	s_delay_alu instid0(VALU_DEP_4) | instskip(NEXT) | instid1(VALU_DEP_4)
	v_add_f16_e32 v75, v67, v75
	v_add_f16_e32 v79, v13, v8
	s_delay_alu instid0(VALU_DEP_4) | instskip(NEXT) | instid1(VALU_DEP_4)
	v_add_f16_e32 v69, v70, v69
	v_mul_f16_e32 v10, 0x3a52, v10
	s_delay_alu instid0(VALU_DEP_4) | instskip(NEXT) | instid1(VALU_DEP_4)
	v_add_f16_e32 v71, v75, v71
	v_add_f16_e32 v79, v79, v64
	s_delay_alu instid0(VALU_DEP_4)
	v_add_f16_e32 v74, v69, v80
	v_sub_f16_e32 v80, v13, v8
	v_sub_f16_e32 v13, v64, v13
	v_lshlrev_b32_e32 v76, 16, v71
	v_fmac_f16_e32 v71, 0xbcab, v75
	v_and_b32_e32 v77, 0xffff, v74
	v_fmac_f16_e32 v74, 0xbcab, v69
	v_sub_f16_e32 v69, v70, v68
	v_sub_f16_e32 v70, v63, v67
	;; [unrolled: 1-line block ×3, first 2 shown]
	v_or_b32_e32 v76, v76, v77
	v_sub_f16_e32 v77, v12, v3
	v_add_f16_e32 v75, v12, v3
	v_sub_f16_e32 v12, v62, v12
	v_mul_f16_e32 v70, 0x3a52, v70
	v_mul_f16_e32 v80, 0xb846, v80
	;; [unrolled: 1-line block ×3, first 2 shown]
	v_add_f16_e32 v75, v75, v62
	v_fmamk_f16 v87, v69, 0x2b26, v10
	v_fmamk_f16 v88, v67, 0x2b26, v70
	;; [unrolled: 1-line block ×4, first 2 shown]
	v_sub_f16_e32 v3, v3, v62
	v_add_f16_e32 v87, v87, v74
	v_add_f16_e32 v88, v88, v71
	v_fmac_f16_e32 v89, 0x370e, v79
	v_fmac_f16_e32 v90, 0x370e, v75
	v_sub_f16_e32 v8, v8, v64
	v_mul_f16_e32 v62, 0x2b26, v69
	v_fma_f16 v64, v3, 0x3b00, -v77
	v_add_f16_e32 v91, v89, v87
	v_sub_f16_e32 v92, v88, v90
	v_mul_f16_e32 v3, 0xbb00, v3
	v_sub_f16_e32 v63, v65, v63
	v_fmac_f16_e32 v64, 0x370e, v75
	v_lshrrev_b32_e32 v69, 16, v44
	v_pack_b32_f16 v91, v91, v92
	ds_store_b32 v239, v2 offset:168
	ds_store_2addr_b32 v254, v76, v91 offset1:7
	v_sub_f16_e32 v2, v68, v66
	v_fmac_f16_e32 v3, 0xb574, v12
	v_fma_f16 v12, v8, 0x3b00, -v80
	v_mul_f16_e32 v8, 0xbb00, v8
	s_delay_alu instid0(VALU_DEP_4) | instskip(SKIP_2) | instid1(VALU_DEP_4)
	v_fma_f16 v62, v2, 0x39e0, -v62
	v_fma_f16 v2, v2, 0xb9e0, -v10
	v_mul_f16_e32 v10, 0x2b26, v67
	v_fmac_f16_e32 v8, 0xb574, v13
	v_fmac_f16_e32 v3, 0x370e, v75
	v_add_f16_e32 v13, v62, v74
	v_add_f16_e32 v2, v2, v74
	v_fma_f16 v10, v63, 0x39e0, -v10
	v_fma_f16 v63, v63, 0xb9e0, -v70
	v_fmac_f16_e32 v8, 0x370e, v79
	v_fmac_f16_e32 v12, 0x370e, v79
	s_delay_alu instid0(VALU_DEP_4) | instskip(NEXT) | instid1(VALU_DEP_4)
	v_add_f16_e32 v10, v10, v71
	v_add_f16_e32 v62, v63, v71
	s_delay_alu instid0(VALU_DEP_4) | instskip(SKIP_1) | instid1(VALU_DEP_4)
	v_add_f16_e32 v63, v8, v2
	v_sub_f16_e32 v2, v2, v8
	v_add_f16_e32 v66, v64, v10
	s_delay_alu instid0(VALU_DEP_4)
	v_sub_f16_e32 v65, v62, v3
	v_sub_f16_e32 v10, v10, v64
	v_add_f16_e32 v3, v3, v62
	v_lshrrev_b32_e32 v62, 16, v108
	v_mul_f16_e32 v64, v108, v16
	v_pack_b32_f16 v63, v63, v65
	v_sub_f16_e32 v65, v13, v12
	v_add_f16_e32 v12, v12, v13
	v_pack_b32_f16 v2, v2, v3
	v_fmac_f16_e64 v64, v62, v170
	v_lshrrev_b32_e32 v13, 16, v26
	v_pack_b32_f16 v65, v65, v66
	v_pack_b32_f16 v8, v12, v10
	v_lshrrev_b32_e32 v10, 16, v106
	ds_store_2addr_b32 v254, v63, v65 offset0:14 offset1:21
	v_mul_f16_e32 v63, v62, v16
	v_lshrrev_b32_e32 v16, 16, v171
	ds_store_2addr_b32 v254, v8, v2 offset0:28 offset1:35
	v_lshrrev_b32_e32 v2, 16, v104
	v_lshrrev_b32_e32 v8, 16, v24
	;; [unrolled: 1-line block ×3, first 2 shown]
	v_mul_f16_e32 v65, v46, v16
	v_fma_f16 v63, v108, v170, -v63
	v_mul_f16_e32 v12, v10, v13
	v_mul_f16_e32 v3, v2, v8
	;; [unrolled: 1-line block ×3, first 2 shown]
	v_fmac_f16_e64 v65, v62, v171
	v_mul_f16_e32 v62, v62, v16
	v_lshrrev_b32_e32 v16, 16, v25
	v_fma_f16 v3, v104, v24, -v3
	v_fmac_f16_e32 v8, v2, v24
	v_mul_f16_e32 v13, v106, v13
	v_fma_f16 v46, v46, v171, -v62
	v_mul_f16_e32 v66, v50, v16
	v_fma_f16 v12, v106, v26, -v12
	v_sub_f16_e32 v2, v87, v89
	v_fmac_f16_e32 v13, v10, v26
	v_add_f16_e32 v62, v3, v46
	v_sub_f16_e32 v3, v3, v46
	v_add_f16_e32 v46, v8, v65
	v_sub_f16_e32 v8, v8, v65
	v_lshrrev_b32_e32 v65, 16, v50
	v_add_f16_e32 v10, v90, v88
	s_delay_alu instid0(VALU_DEP_2) | instskip(SKIP_2) | instid1(VALU_DEP_4)
	v_fmac_f16_e32 v66, v65, v25
	v_mul_f16_e32 v65, v65, v16
	v_lshrrev_b32_e32 v16, 16, v27
	v_pack_b32_f16 v2, v2, v10
	s_delay_alu instid0(VALU_DEP_3) | instskip(NEXT) | instid1(VALU_DEP_3)
	v_fma_f16 v50, v50, v25, -v65
	v_mul_f16_e32 v67, v48, v16
	s_delay_alu instid0(VALU_DEP_2) | instskip(SKIP_4) | instid1(VALU_DEP_3)
	v_add_f16_e32 v65, v50, v63
	v_sub_f16_e32 v50, v50, v63
	v_add_f16_e32 v63, v66, v64
	v_sub_f16_e32 v64, v66, v64
	v_lshrrev_b32_e32 v66, 16, v48
	v_add_f16_e32 v68, v63, v46
	s_delay_alu instid0(VALU_DEP_2) | instskip(SKIP_2) | instid1(VALU_DEP_2)
	v_fmac_f16_e32 v67, v66, v27
	v_mul_f16_e32 v66, v66, v16
	v_lshrrev_b32_e32 v16, 16, v174
	v_fma_f16 v48, v48, v27, -v66
	s_delay_alu instid0(VALU_DEP_1)
	v_add_f16_e32 v66, v12, v48
	v_sub_f16_e32 v12, v48, v12
	v_add_f16_e32 v48, v13, v67
	v_sub_f16_e32 v13, v67, v13
	;; [unrolled: 2-line block ×3, first 2 shown]
	v_sub_f16_e32 v1, v66, v65
	v_add_f16_e32 v68, v48, v68
	v_sub_f16_e32 v10, v46, v48
	v_add_f16_e32 v67, v66, v67
	;; [unrolled: 2-line block ×3, first 2 shown]
	v_add_f16_e32 v69, v68, v69
	v_mul_f16_e32 v0, 0x3a52, v0
	v_add_f16_e32 v44, v67, v44
	v_mul_f16_e32 v10, 0x3a52, v10
	v_add_f16_e32 v66, v66, v3
	v_lshlrev_b32_e32 v70, 16, v69
	v_fmac_f16_e32 v69, 0xbcab, v68
	v_and_b32_e32 v71, 0xffff, v44
	v_fmac_f16_e32 v44, 0xbcab, v67
	v_sub_f16_e32 v67, v12, v50
	v_sub_f16_e32 v12, v3, v12
	v_add_f16_e32 v68, v13, v64
	v_or_b32_e32 v70, v70, v71
	v_sub_f16_e32 v71, v13, v64
	v_sub_f16_e32 v13, v8, v13
	v_mul_f16_e32 v67, 0xb846, v67
	v_add_f16_e32 v68, v68, v8
	v_fmamk_f16 v74, v1, 0x2b26, v0
	v_mul_f16_e32 v71, 0xb846, v71
	v_fmamk_f16 v75, v48, 0x2b26, v10
	v_fmamk_f16 v77, v12, 0x3574, v67
	v_mul_f16_e32 v1, 0x2b26, v1
	v_add_f16_e32 v74, v74, v44
	v_fmamk_f16 v76, v13, 0x3574, v71
	v_add_f16_e32 v75, v75, v69
	v_fmac_f16_e32 v77, 0x370e, v66
	v_sub_f16_e32 v46, v63, v46
	v_sub_f16_e32 v3, v50, v3
	v_fmac_f16_e32 v76, 0x370e, v68
	v_sub_f16_e32 v8, v64, v8
	v_sub_f16_e32 v80, v75, v77
	v_fma_f16 v10, v46, 0xb9e0, -v10
	s_delay_alu instid0(VALU_DEP_4) | instskip(NEXT) | instid1(VALU_DEP_2)
	v_add_f16_e32 v79, v76, v74
	v_add_f16_e32 v10, v10, v69
	s_delay_alu instid0(VALU_DEP_2) | instskip(SKIP_3) | instid1(VALU_DEP_1)
	v_pack_b32_f16 v79, v79, v80
	ds_store_b32 v254, v2 offset:168
	ds_store_2addr_b32 v180, v70, v79 offset1:7
	v_sub_f16_e32 v2, v65, v62
	v_fma_f16 v1, v2, 0x39e0, -v1
	v_fma_f16 v0, v2, 0xb9e0, -v0
	v_mul_f16_e32 v2, 0x2b26, v48
	s_delay_alu instid0(VALU_DEP_3) | instskip(NEXT) | instid1(VALU_DEP_3)
	v_add_f16_e32 v1, v1, v44
	v_add_f16_e32 v0, v0, v44
	s_delay_alu instid0(VALU_DEP_3) | instskip(SKIP_2) | instid1(VALU_DEP_3)
	v_fma_f16 v2, v46, 0x39e0, -v2
	v_fma_f16 v46, v3, 0x3b00, -v67
	v_mul_f16_e32 v3, 0xbb00, v3
	v_add_f16_e32 v2, v2, v69
	s_delay_alu instid0(VALU_DEP_3) | instskip(NEXT) | instid1(VALU_DEP_3)
	v_fmac_f16_e32 v46, 0x370e, v66
	v_fmac_f16_e32 v3, 0xb574, v12
	v_fma_f16 v12, v8, 0x3b00, -v71
	v_mul_f16_e32 v8, 0xbb00, v8
	s_delay_alu instid0(VALU_DEP_4) | instskip(NEXT) | instid1(VALU_DEP_4)
	v_add_f16_e32 v48, v46, v2
	v_fmac_f16_e32 v3, 0x370e, v66
	s_delay_alu instid0(VALU_DEP_4) | instskip(NEXT) | instid1(VALU_DEP_4)
	v_fmac_f16_e32 v12, 0x370e, v68
	v_fmac_f16_e32 v8, 0xb574, v13
	v_sub_f16_e32 v2, v2, v46
	s_delay_alu instid0(VALU_DEP_4) | instskip(SKIP_1) | instid1(VALU_DEP_4)
	v_sub_f16_e32 v44, v10, v3
	v_add_f16_e32 v3, v3, v10
	v_fmac_f16_e32 v8, 0x370e, v68
	v_lshrrev_b32_e32 v10, 16, v23
	s_delay_alu instid0(VALU_DEP_2) | instskip(SKIP_1) | instid1(VALU_DEP_2)
	v_add_f16_e32 v13, v8, v0
	v_sub_f16_e32 v0, v0, v8
	v_pack_b32_f16 v13, v13, v44
	v_sub_f16_e32 v44, v1, v12
	v_add_f16_e32 v1, v12, v1
	v_lshrrev_b32_e32 v12, 16, v47
	v_pack_b32_f16 v0, v0, v3
	v_lshrrev_b32_e32 v3, 16, v49
	v_pack_b32_f16 v44, v44, v48
	v_pack_b32_f16 v1, v1, v2
	v_lshrrev_b32_e32 v2, 16, v21
	s_delay_alu instid0(VALU_DEP_4)
	v_mul_f16_e32 v8, v3, v10
	ds_store_2addr_b32 v180, v13, v44 offset0:14 offset1:21
	v_mul_f16_e32 v13, v12, v16
	v_mul_f16_e32 v44, v47, v16
	v_lshrrev_b32_e32 v16, 16, v20
	ds_store_2addr_b32 v180, v1, v0 offset0:28 offset1:35
	v_lshrrev_b32_e32 v0, 16, v51
	v_fma_f16 v13, v47, v174, -v13
	v_fmac_f16_e64 v44, v12, v174
	v_lshrrev_b32_e32 v12, 16, v42
	v_mul_f16_e32 v46, v42, v16
	v_mul_f16_e32 v1, v0, v2
	;; [unrolled: 1-line block ×4, first 2 shown]
	v_fma_f16 v8, v49, v23, -v8
	v_fmac_f16_e32 v46, v12, v20
	v_mul_f16_e32 v12, v12, v16
	v_lshrrev_b32_e32 v16, 16, v173
	v_fma_f16 v1, v51, v21, -v1
	v_fmac_f16_e32 v2, v0, v21
	v_fmac_f16_e32 v10, v3, v23
	v_fma_f16 v12, v42, v20, -v12
	v_mul_f16_e32 v47, v14, v16
	v_sub_f16_e32 v0, v74, v76
	v_add_f16_e32 v3, v77, v75
	v_lshrrev_b32_e32 v49, 16, v45
	v_add_f16_e32 v42, v12, v13
	v_sub_f16_e32 v12, v12, v13
	v_add_f16_e32 v13, v46, v44
	v_sub_f16_e32 v44, v46, v44
	v_lshrrev_b32_e32 v46, 16, v14
	v_pack_b32_f16 v0, v0, v3
	s_delay_alu instid0(VALU_DEP_2)
	v_fmac_f16_e64 v47, v46, v173
	v_mul_f16_e32 v46, v46, v16
	v_lshrrev_b32_e32 v16, 16, v22
	ds_store_b32 v180, v0 offset:168
	v_mad_u16 v0, v72, 49, v73
	v_fma_f16 v14, v14, v173, -v46
	v_mul_f16_e32 v48, v40, v16
	s_delay_alu instid0(VALU_DEP_3) | instskip(NEXT) | instid1(VALU_DEP_3)
	v_and_b32_e32 v0, 0xffff, v0
	v_add_f16_e32 v46, v1, v14
	v_sub_f16_e32 v1, v1, v14
	v_add_f16_e32 v14, v2, v47
	v_sub_f16_e32 v2, v2, v47
	v_lshrrev_b32_e32 v47, 16, v40
	v_lshlrev_b32_e32 v179, 2, v0
	v_sub_f16_e32 v0, v46, v42
	v_add_f16_e32 v3, v14, v13
	s_delay_alu instid0(VALU_DEP_4) | instskip(SKIP_2) | instid1(VALU_DEP_2)
	v_fmac_f16_e32 v48, v47, v22
	v_mul_f16_e32 v47, v47, v16
	v_lshrrev_b32_e32 v16, 16, v86
	v_fma_f16 v40, v40, v22, -v47
	s_delay_alu instid0(VALU_DEP_1) | instskip(SKIP_4) | instid1(VALU_DEP_4)
	v_add_f16_e32 v47, v40, v8
	v_sub_f16_e32 v8, v8, v40
	v_add_f16_e32 v40, v48, v10
	v_sub_f16_e32 v10, v10, v48
	;; [unrolled: 2-line block ×3, first 2 shown]
	s_delay_alu instid0(VALU_DEP_4) | instskip(NEXT) | instid1(VALU_DEP_4)
	v_add_f16_e32 v3, v40, v3
	v_sub_f16_e32 v64, v10, v2
	s_delay_alu instid0(VALU_DEP_4)
	v_add_f16_e32 v48, v47, v48
	v_add_f16_e32 v63, v10, v2
	v_mul_f16_e32 v62, 0xb846, v62
	v_add_f16_e32 v49, v3, v49
	v_mul_f16_e32 v64, 0xb846, v64
	v_add_f16_e32 v45, v48, v45
	v_sub_f16_e32 v2, v2, v44
	v_sub_f16_e32 v10, v44, v10
	v_lshlrev_b32_e32 v50, 16, v49
	v_fmac_f16_e32 v49, 0xbcab, v3
	v_and_b32_e32 v51, 0xffff, v45
	v_sub_f16_e32 v3, v42, v47
	v_sub_f16_e32 v47, v47, v46
	v_fmac_f16_e32 v45, 0xbcab, v48
	v_sub_f16_e32 v48, v13, v40
	v_or_b32_e32 v50, v50, v51
	v_add_f16_e32 v51, v8, v1
	v_sub_f16_e32 v1, v1, v12
	v_sub_f16_e32 v40, v40, v14
	v_sub_f16_e32 v8, v12, v8
	v_mul_f16_e32 v3, 0x3a52, v3
	v_add_f16_e32 v51, v51, v12
	v_sub_f16_e32 v13, v14, v13
	v_mul_f16_e32 v12, 0x2b26, v47
	v_fma_f16 v14, v1, 0x3b00, -v62
	v_mul_f16_e32 v1, 0xbb00, v1
	v_mul_f16_e32 v48, 0x3a52, v48
	v_fmamk_f16 v65, v47, 0x2b26, v3
	v_fmamk_f16 v68, v8, 0x3574, v62
	v_fma_f16 v12, v0, 0x39e0, -v12
	v_fma_f16 v0, v0, 0xb9e0, -v3
	v_mul_f16_e32 v3, 0x2b26, v40
	v_fmac_f16_e32 v1, 0xb574, v8
	v_fma_f16 v8, v2, 0x3b00, -v64
	v_mul_f16_e32 v2, 0xbb00, v2
	v_add_f16_e32 v63, v63, v44
	v_fma_f16 v3, v13, 0x39e0, -v3
	v_fma_f16 v13, v13, 0xb9e0, -v48
	v_fmamk_f16 v67, v10, 0x3574, v64
	v_fmac_f16_e32 v2, 0xb574, v10
	v_add_f16_e32 v10, v12, v45
	v_add_f16_e32 v0, v0, v45
	;; [unrolled: 1-line block ×3, first 2 shown]
	v_fmac_f16_e32 v1, 0x370e, v51
	v_fmac_f16_e32 v2, 0x370e, v63
	v_fmamk_f16 v66, v40, 0x2b26, v48
	v_add_f16_e32 v3, v3, v49
	v_fmac_f16_e32 v14, 0x370e, v51
	v_fmac_f16_e32 v8, 0x370e, v63
	v_add_f16_e32 v13, v2, v0
	v_sub_f16_e32 v40, v12, v1
	v_sub_f16_e32 v0, v0, v2
	v_add_f16_e32 v42, v14, v3
	v_sub_f16_e32 v3, v3, v14
	v_add_f16_e32 v1, v1, v12
	v_pack_b32_f16 v13, v13, v40
	v_sub_f16_e32 v40, v10, v8
	v_add_f16_e32 v8, v8, v10
	v_lshrrev_b32_e32 v10, 16, v41
	v_lshrrev_b32_e32 v14, 16, v5
	v_pack_b32_f16 v0, v0, v1
	v_pack_b32_f16 v40, v40, v42
	;; [unrolled: 1-line block ×3, first 2 shown]
	v_lshrrev_b32_e32 v3, 16, v6
	v_mul_f16_e64 v12, v10, v252
	v_add_f16_e32 v65, v65, v45
	ds_store_2addr_b32 v179, v13, v40 offset0:14 offset1:21
	v_mul_f16_e32 v40, v14, v16
	ds_store_2addr_b32 v179, v2, v0 offset0:28 offset1:35
	v_lshrrev_b32_e32 v0, 16, v43
	v_mul_f16_e64 v2, v43, v226
	v_mul_f16_e64 v8, v3, v246
	v_fma_f16 v12, v41, v85, -v12
	v_mul_f16_e64 v13, v41, v252
	v_fma_f16 v40, v5, v86, -v40
	v_mul_f16_e32 v5, v5, v16
	v_lshrrev_b32_e32 v41, 16, v15
	v_lshrrev_b32_e32 v16, 16, v244
	v_mul_f16_e64 v1, v0, v226
	v_fma_f16 v8, v6, v84, -v8
	v_mul_f16_e64 v6, v6, v246
	v_fmac_f16_e32 v2, v0, v83
	v_mul_f16_e32 v42, v41, v16
	v_fmac_f16_e32 v13, v10, v85
	v_lshrrev_b32_e32 v0, 16, v11
	v_lshrrev_b32_e32 v10, 16, v245
	v_fmac_f16_e32 v6, v3, v84
	v_fma_f16 v42, v15, v244, -v42
	v_mul_f16_e32 v15, v15, v16
	v_add_f16_e32 v66, v66, v49
	v_mul_f16_e32 v3, v0, v10
	v_mul_f16_e32 v10, v11, v10
	v_fmac_f16_e32 v67, 0x370e, v63
	v_fmac_f16_e32 v68, 0x370e, v51
	v_fma_f16 v1, v43, v83, -v1
	v_fmac_f16_e64 v15, v41, v244
	v_fma_f16 v3, v11, v245, -v3
	v_fmac_f16_e64 v10, v0, v245
	v_fmac_f16_e32 v5, v14, v86
	v_sub_f16_e32 v0, v65, v67
	v_add_f16_e32 v11, v68, v66
	v_add_f16_e32 v14, v1, v3
	v_sub_f16_e32 v1, v1, v3
	v_add_f16_e32 v3, v2, v10
	v_sub_f16_e32 v2, v2, v10
	v_add_f16_e32 v10, v8, v42
	v_add_f16_e32 v41, v6, v15
	v_sub_f16_e32 v6, v6, v15
	v_add_f16_e32 v15, v12, v40
	v_sub_f16_e32 v12, v40, v12
	;; [unrolled: 2-line block ×3, first 2 shown]
	v_add_f16_e32 v13, v10, v14
	v_pack_b32_f16 v0, v0, v11
	v_add_f16_e32 v11, v41, v3
	v_sub_f16_e32 v8, v8, v42
	v_lshrrev_b32_e32 v42, 16, v4
	v_add_f16_e32 v13, v15, v13
	ds_store_b32 v179, v0 offset:168
	v_add_f16_e32 v11, v40, v11
	v_mad_u16 v0, v7, 49, v9
	v_sub_f16_e32 v7, v14, v15
	v_add_f16_e32 v4, v13, v4
	v_sub_f16_e32 v9, v15, v10
	v_add_f16_e32 v42, v11, v42
	v_add_f16_e32 v15, v12, v8
	v_sub_f16_e32 v45, v5, v6
	v_and_b32_e32 v44, 0xffff, v4
	v_fmac_f16_e32 v4, 0xbcab, v13
	v_lshlrev_b32_e32 v43, 16, v42
	v_fmac_f16_e32 v42, 0xbcab, v11
	v_sub_f16_e32 v11, v3, v40
	v_sub_f16_e32 v13, v40, v41
	;; [unrolled: 1-line block ×3, first 2 shown]
	v_or_b32_e32 v43, v43, v44
	v_add_f16_e32 v44, v5, v6
	v_and_b32_e32 v0, 0xffff, v0
	v_sub_f16_e32 v12, v1, v12
	v_sub_f16_e32 v5, v2, v5
	v_add_f16_e32 v15, v15, v1
	v_mul_f16_e32 v7, 0x3a52, v7
	v_add_f16_e32 v44, v44, v2
	v_mul_f16_e32 v40, 0xb846, v40
	v_mul_f16_e32 v45, 0xb846, v45
	v_lshlrev_b32_e32 v178, 2, v0
	v_sub_f16_e32 v0, v10, v14
	v_sub_f16_e32 v1, v8, v1
	v_sub_f16_e32 v2, v6, v2
	v_mul_f16_e32 v6, 0x2b26, v9
	v_mul_f16_e32 v11, 0x3a52, v11
	v_fmamk_f16 v46, v9, 0x2b26, v7
	v_sub_f16_e32 v3, v41, v3
	v_fma_f16 v8, v1, 0x3b00, -v40
	v_fma_f16 v6, v0, 0x39e0, -v6
	;; [unrolled: 1-line block ×3, first 2 shown]
	v_mul_f16_e32 v7, 0x2b26, v13
	v_mul_f16_e32 v1, 0xbb00, v1
	v_fma_f16 v9, v2, 0x3b00, -v45
	v_mul_f16_e32 v2, 0xbb00, v2
	v_add_f16_e32 v0, v0, v4
	v_fma_f16 v7, v3, 0x39e0, -v7
	v_fma_f16 v3, v3, 0xb9e0, -v11
	v_fmac_f16_e32 v1, 0xb574, v12
	v_fmac_f16_e32 v2, 0xb574, v5
	v_add_f16_e32 v46, v46, v4
	v_fmamk_f16 v48, v5, 0x3574, v45
	v_add_f16_e32 v3, v3, v42
	v_fmac_f16_e32 v1, 0x370e, v15
	v_fmac_f16_e32 v2, 0x370e, v44
	v_add_f16_e32 v5, v6, v4
	v_add_f16_e32 v4, v7, v42
	v_fmac_f16_e32 v8, 0x370e, v15
	v_fmac_f16_e32 v9, 0x370e, v44
	v_add_f16_e32 v6, v2, v0
	v_sub_f16_e32 v7, v3, v1
	v_add_f16_e32 v69, v67, v65
	v_sub_f16_e32 v70, v66, v68
	v_fmamk_f16 v47, v13, 0x2b26, v11
	v_fmamk_f16 v49, v12, 0x3574, v40
	v_pack_b32_f16 v6, v6, v7
	v_sub_f16_e32 v7, v5, v9
	v_add_f16_e32 v10, v8, v4
	v_add_f16_e32 v5, v9, v5
	v_sub_f16_e32 v4, v4, v8
	v_sub_f16_e32 v0, v0, v2
	v_add_f16_e32 v1, v1, v3
	v_pack_b32_f16 v69, v69, v70
	v_add_f16_e32 v47, v47, v42
	v_fmac_f16_e32 v48, 0x370e, v44
	v_fmac_f16_e32 v49, 0x370e, v15
	v_pack_b32_f16 v2, v5, v4
	v_pack_b32_f16 v0, v0, v1
	ds_store_2addr_b32 v179, v50, v69 offset1:7
	v_add_f16_e32 v50, v48, v46
	v_sub_f16_e32 v51, v47, v49
	v_add_f16_e32 v1, v49, v47
	ds_store_2addr_b32 v178, v2, v0 offset0:28 offset1:35
	v_sub_f16_e32 v0, v46, v48
	v_mad_u64_u32 v[8:9], null, v199, 24, s[6:7]
	v_pack_b32_f16 v50, v50, v51
	v_pack_b32_f16 v7, v7, v10
	s_delay_alu instid0(VALU_DEP_4)
	v_pack_b32_f16 v0, v0, v1
	v_mul_lo_u16 v1, 0x4f, v57
	ds_store_2addr_b32 v178, v43, v50 offset1:7
	ds_store_2addr_b32 v178, v6, v7 offset0:14 offset1:21
	ds_store_b32 v178, v0 offset:168
	s_waitcnt lgkmcnt(0)
	s_barrier
	buffer_gl0_inv
	s_clause 0x1
	global_load_b64 v[240:241], v[8:9], off offset:184
	global_load_b128 v[212:215], v[8:9], off offset:168
	v_lshrrev_b16 v1, 8, v1
	ds_load_2addr_b32 v[10:11], v253 offset0:38 offset1:87
	ds_load_2addr_b32 v[13:14], v186 offset0:10 offset1:59
	ds_load_2addr_b32 v[62:63], v222 offset0:92 offset1:141
	v_sub_nc_u16 v2, v52, v1
	s_delay_alu instid0(VALU_DEP_1) | instskip(NEXT) | instid1(VALU_DEP_1)
	v_lshrrev_b16 v2, 1, v2
	v_and_b32_e32 v2, 0x7f, v2
	s_delay_alu instid0(VALU_DEP_1) | instskip(NEXT) | instid1(VALU_DEP_1)
	v_add_nc_u16 v1, v2, v1
	v_lshrrev_b16 v0, 5, v1
	s_delay_alu instid0(VALU_DEP_1) | instskip(NEXT) | instid1(VALU_DEP_1)
	v_mul_lo_u16 v0, v0, 49
	v_sub_nc_u16 v40, v52, v0
	v_mul_lo_u16 v0, 0x4f, v61
	s_delay_alu instid0(VALU_DEP_1) | instskip(NEXT) | instid1(VALU_DEP_1)
	v_lshrrev_b16 v0, 8, v0
	v_sub_nc_u16 v1, v53, v0
	s_delay_alu instid0(VALU_DEP_1) | instskip(NEXT) | instid1(VALU_DEP_1)
	v_lshrrev_b16 v1, 1, v1
	v_and_b32_e32 v1, 0x7f, v1
	s_delay_alu instid0(VALU_DEP_1) | instskip(SKIP_1) | instid1(VALU_DEP_2)
	v_add_nc_u16 v0, v1, v0
	v_mul_lo_u16 v1, 0x4f, v60
	v_lshrrev_b16 v0, 5, v0
	s_delay_alu instid0(VALU_DEP_2) | instskip(NEXT) | instid1(VALU_DEP_2)
	v_lshrrev_b16 v1, 8, v1
	v_mul_lo_u16 v0, v0, 49
	s_delay_alu instid0(VALU_DEP_2) | instskip(NEXT) | instid1(VALU_DEP_2)
	v_sub_nc_u16 v2, v54, v1
	v_sub_nc_u16 v41, v53, v0
	s_delay_alu instid0(VALU_DEP_2) | instskip(NEXT) | instid1(VALU_DEP_1)
	v_lshrrev_b16 v2, 1, v2
	v_and_b32_e32 v2, 0x7f, v2
	s_delay_alu instid0(VALU_DEP_1) | instskip(NEXT) | instid1(VALU_DEP_1)
	v_add_nc_u16 v1, v2, v1
	v_lshrrev_b16 v0, 5, v1
	s_delay_alu instid0(VALU_DEP_1) | instskip(NEXT) | instid1(VALU_DEP_1)
	v_mul_lo_u16 v0, v0, 49
	v_sub_nc_u16 v42, v54, v0
	v_mul_u32_u24_e32 v0, 0x4e5f, v59
	ds_load_2addr_b32 v[59:60], v181 offset0:174 offset1:223
	v_and_b32_e32 v91, 0xff, v42
	v_lshrrev_b32_e32 v0, 16, v0
	s_delay_alu instid0(VALU_DEP_2) | instskip(NEXT) | instid1(VALU_DEP_2)
	v_mad_u64_u32 v[48:49], null, v91, 24, s[6:7]
	v_sub_nc_u16 v1, v55, v0
	s_delay_alu instid0(VALU_DEP_1) | instskip(NEXT) | instid1(VALU_DEP_1)
	v_lshrrev_b16 v1, 1, v1
	v_add_nc_u16 v0, v1, v0
	v_mul_u32_u24_e32 v1, 0x4e5f, v58
	s_delay_alu instid0(VALU_DEP_2) | instskip(NEXT) | instid1(VALU_DEP_2)
	v_lshrrev_b16 v0, 5, v0
	v_lshrrev_b32_e32 v1, 16, v1
	s_delay_alu instid0(VALU_DEP_2) | instskip(NEXT) | instid1(VALU_DEP_2)
	v_mul_lo_u16 v0, v0, 49
	v_sub_nc_u16 v2, v56, v1
	s_delay_alu instid0(VALU_DEP_2) | instskip(NEXT) | instid1(VALU_DEP_2)
	v_sub_nc_u16 v79, v55, v0
	v_lshrrev_b16 v2, 1, v2
	s_delay_alu instid0(VALU_DEP_1) | instskip(SKIP_2) | instid1(VALU_DEP_2)
	v_add_nc_u16 v1, v2, v1
	s_waitcnt lgkmcnt(2)
	v_lshrrev_b32_e32 v2, 16, v13
	v_lshrrev_b16 v0, 5, v1
	s_delay_alu instid0(VALU_DEP_1) | instskip(NEXT) | instid1(VALU_DEP_1)
	v_mul_lo_u16 v0, v0, 49
	v_sub_nc_u16 v15, v56, v0
	v_lshrrev_b32_e32 v0, 16, v11
	s_waitcnt vmcnt(1)
	v_lshrrev_b32_e32 v175, 16, v241
	s_waitcnt vmcnt(0)
	v_lshrrev_b32_e32 v177, 16, v212
	v_lshrrev_b32_e32 v164, 16, v240
	;; [unrolled: 1-line block ×4, first 2 shown]
	v_mul_f16_e64 v3, v13, v175
	v_mul_f16_e64 v1, v11, v177
	v_lshrrev_b32_e32 v182, 16, v214
	s_delay_alu instid0(VALU_DEP_3) | instskip(NEXT) | instid1(VALU_DEP_3)
	v_fmac_f16_e64 v3, v2, v241
	v_fmac_f16_e64 v1, v0, v212
	v_mul_f16_e64 v0, v0, v177
	v_mul_f16_e64 v2, v2, v175
	s_delay_alu instid0(VALU_DEP_3) | instskip(NEXT) | instid1(VALU_DEP_3)
	v_add_f16_e32 v89, v1, v3
	v_fma_f16 v0, v11, v212, -v0
	ds_load_2addr_b32 v[11:12], v195 offset0:130 offset1:179
	v_fma_f16 v2, v13, v241, -v2
	v_sub_f16_e32 v88, v1, v3
	s_waitcnt lgkmcnt(1)
	v_mul_f16_e64 v1, v59, v183
	s_delay_alu instid0(VALU_DEP_3) | instskip(SKIP_2) | instid1(VALU_DEP_1)
	v_add_f16_e32 v80, v0, v2
	v_sub_f16_e32 v87, v0, v2
	v_lshrrev_b32_e32 v0, 16, v59
	v_fmac_f16_e64 v1, v0, v213
	v_mul_f16_e64 v0, v0, v183
	s_delay_alu instid0(VALU_DEP_1) | instskip(SKIP_3) | instid1(VALU_DEP_1)
	v_fma_f16 v0, v59, v213, -v0
	s_waitcnt lgkmcnt(0)
	v_lshrrev_b32_e32 v2, 16, v12
	v_mul_f16_e64 v3, v12, v164
	v_fmac_f16_e64 v3, v2, v240
	v_mul_f16_e64 v2, v2, v164
	s_delay_alu instid0(VALU_DEP_2) | instskip(NEXT) | instid1(VALU_DEP_2)
	v_add_f16_e32 v115, v1, v3
	v_fma_f16 v2, v12, v240, -v2
	ds_load_2addr_b32 v[12:13], v99 offset0:84 offset1:133
	v_sub_f16_e32 v114, v1, v3
	v_mul_f16_e64 v3, v62, v190
	v_add_f16_e32 v90, v0, v2
	v_sub_f16_e32 v113, v0, v2
	v_lshrrev_b32_e32 v2, 16, v62
	s_delay_alu instid0(VALU_DEP_1) | instskip(SKIP_1) | instid1(VALU_DEP_1)
	v_fmac_f16_e64 v3, v2, v215
	v_mul_f16_e64 v2, v2, v190
	v_fma_f16 v2, v62, v215, -v2
	ds_load_2addr_b32 v[61:62], v251 offset1:49
	s_waitcnt lgkmcnt(1)
	v_lshrrev_b32_e32 v0, 16, v13
	v_mul_f16_e64 v1, v13, v182
	s_delay_alu instid0(VALU_DEP_1) | instskip(SKIP_1) | instid1(VALU_DEP_2)
	v_fmac_f16_e64 v1, v0, v214
	v_mul_f16_e64 v0, v0, v182
	v_sub_f16_e32 v5, v3, v1
	s_delay_alu instid0(VALU_DEP_2) | instskip(NEXT) | instid1(VALU_DEP_2)
	v_fma_f16 v0, v13, v214, -v0
	v_sub_f16_e32 v13, v5, v114
	s_delay_alu instid0(VALU_DEP_2)
	v_add_f16_e32 v4, v0, v2
	v_sub_f16_e32 v0, v2, v0
	v_add_f16_e32 v2, v1, v3
	v_add_f16_e32 v1, v90, v80
	;; [unrolled: 1-line block ×3, first 2 shown]
	v_sub_f16_e32 v123, v88, v5
	v_sub_f16_e32 v122, v87, v0
	;; [unrolled: 1-line block ×3, first 2 shown]
	v_add_f16_e32 v1, v4, v1
	v_add_f16_e32 v6, v2, v3
	s_waitcnt lgkmcnt(0)
	v_lshrrev_b32_e32 v3, 16, v61
	s_delay_alu instid0(VALU_DEP_3) | instskip(NEXT) | instid1(VALU_DEP_2)
	v_add_f16_e32 v61, v1, v61
	v_add_f16_e32 v116, v6, v3
	s_delay_alu instid0(VALU_DEP_2) | instskip(SKIP_1) | instid1(VALU_DEP_3)
	v_and_b32_e32 v7, 0xffff, v61
	v_fmac_f16_e32 v61, 0xbcab, v1
	v_lshlrev_b32_e32 v3, 16, v116
	v_fmac_f16_e32 v116, 0xbcab, v6
	v_sub_f16_e32 v6, v80, v4
	v_sub_f16_e32 v1, v4, v90
	;; [unrolled: 1-line block ×3, first 2 shown]
	v_or_b32_e32 v3, v3, v7
	v_add_f16_e32 v2, v0, v113
	v_sub_f16_e32 v7, v0, v113
	v_add_f16_e32 v0, v5, v114
	v_mul_f16_e32 v127, 0x3a52, v6
	v_mul_f16_e32 v125, 0x3a52, v4
	v_add_f16_e32 v120, v2, v87
	v_mul_f16_e32 v126, 0xb846, v7
	v_mul_f16_e32 v2, 0xb846, v13
	v_add_f16_e32 v121, v0, v88
	v_fmamk_f16 v0, v1, 0x2b26, v127
	v_fmamk_f16 v4, v124, 0x2b26, v125
	;; [unrolled: 1-line block ×4, first 2 shown]
	v_mul_lo_u16 v7, v79, 24
	v_add_f16_e32 v0, v0, v61
	v_add_f16_e32 v117, v4, v116
	v_fmac_f16_e32 v119, 0x370e, v120
	v_fmac_f16_e32 v118, 0x370e, v121
	v_and_b32_e32 v5, 0xff, v40
	v_and_b32_e32 v6, 0xff, v41
	;; [unrolled: 1-line block ×3, first 2 shown]
	v_sub_f16_e32 v43, v117, v119
	v_add_f16_e32 v13, v118, v0
	v_mad_u64_u32 v[44:45], null, v5, 24, s[6:7]
	v_mad_u64_u32 v[46:47], null, v6, 24, s[6:7]
	s_delay_alu instid0(VALU_DEP_3) | instskip(SKIP_2) | instid1(VALU_DEP_1)
	v_pack_b32_f16 v4, v13, v43
	v_mul_lo_u16 v13, v15, 24
	v_add_co_u32 v40, s2, s6, v7
	v_add_co_ci_u32_e64 v41, null, s7, 0, s2
	s_delay_alu instid0(VALU_DEP_3)
	v_and_b32_e32 v13, 0xffff, v13
	v_sub_f16_e32 v7, v113, v87
	v_mul_f16_e32 v1, 0x2b26, v1
	v_mul_f16_e32 v87, 0x2b26, v124
	v_sub_f16_e32 v0, v0, v118
	v_add_co_u32 v42, s2, s6, v13
	s_delay_alu instid0(VALU_DEP_1)
	v_add_co_ci_u32_e64 v43, null, s7, 0, s2
	ds_load_b32 v13, v251 offset:9408
	s_clause 0x9
	global_load_b64 v[111:112], v[44:45], off offset:184
	global_load_b128 v[56:59], v[44:45], off offset:168
	global_load_b64 v[109:110], v[46:47], off offset:184
	global_load_b128 v[52:55], v[46:47], off offset:168
	;; [unrolled: 2-line block ×5, first 2 shown]
	ds_load_2addr_b32 v[128:129], v253 offset0:136 offset1:185
	ds_load_2addr_b32 v[130:131], v207 offset0:54 offset1:103
	;; [unrolled: 1-line block ×17, first 2 shown]
	s_waitcnt vmcnt(0) lgkmcnt(0)
	s_barrier
	buffer_gl0_inv
	ds_store_2addr_b32 v251, v3, v4 offset1:49
	v_sub_f16_e32 v3, v90, v80
	v_sub_f16_e32 v80, v114, v88
	v_sub_f16_e32 v4, v115, v89
	v_fma_f16 v88, v7, 0x3b00, -v126
	v_mul_f16_e32 v7, 0xbb00, v7
	v_fma_f16 v1, v3, 0x39e0, -v1
	v_fma_f16 v2, v80, 0x3b00, -v2
	v_mul_f16_e32 v80, 0xbb00, v80
	v_fma_f16 v3, v3, 0xb9e0, -v127
	v_fma_f16 v87, v4, 0x39e0, -v87
	;; [unrolled: 1-line block ×3, first 2 shown]
	v_fmac_f16_e32 v7, 0xb574, v122
	v_fmac_f16_e32 v80, 0xb574, v123
	v_add_f16_e32 v3, v3, v61
	v_add_f16_e32 v1, v1, v61
	;; [unrolled: 1-line block ×3, first 2 shown]
	v_fmac_f16_e32 v7, 0x370e, v120
	v_fmac_f16_e32 v80, 0x370e, v121
	v_add_f16_e32 v61, v87, v116
	v_fmac_f16_e32 v88, 0x370e, v120
	v_fmac_f16_e32 v2, 0x370e, v121
	v_sub_f16_e32 v89, v4, v7
	v_add_f16_e32 v87, v80, v3
	v_sub_f16_e32 v3, v3, v80
	v_add_f16_e32 v4, v7, v4
	v_add_f16_e32 v90, v88, v61
	v_lshrrev_b32_e32 v80, 16, v132
	v_pack_b32_f16 v87, v87, v89
	v_sub_f16_e32 v89, v1, v2
	v_add_f16_e32 v1, v2, v1
	v_sub_f16_e32 v2, v61, v88
	v_lshrrev_b32_e32 v61, 16, v14
	v_lshrrev_b32_e32 v88, 16, v130
	v_pack_b32_f16 v89, v89, v90
	v_lshrrev_b32_e32 v114, 16, v62
	v_pack_b32_f16 v1, v1, v2
	v_pack_b32_f16 v2, v3, v4
	v_lshrrev_b32_e32 v4, 16, v63
	v_mul_f16_e64 v3, v60, v183
	ds_store_2addr_b32 v251, v87, v89 offset0:98 offset1:147
	v_mul_f16_e64 v87, v132, v164
	ds_store_2addr_b32 v251, v1, v2 offset0:196 offset1:245
	v_lshrrev_b32_e32 v1, 16, v60
	v_mul_f16_e64 v7, v4, v190
	v_mul_f16_e64 v89, v130, v182
	v_fmac_f16_e64 v87, v80, v240
	v_mul_f16_e64 v80, v80, v164
	v_mul_f16_e64 v2, v1, v183
	v_fma_f16 v7, v63, v215, -v7
	v_fmac_f16_e64 v3, v1, v213
	v_fmac_f16_e64 v89, v88, v214
	v_mul_f16_e64 v88, v88, v182
	v_fma_f16 v2, v60, v213, -v2
	v_mul_f16_e64 v60, v63, v190
	v_mul_f16_e64 v63, v61, v175
	v_fma_f16 v80, v132, v240, -v80
	v_fma_f16 v88, v130, v214, -v88
	v_add_f16_e32 v116, v3, v87
	v_fmac_f16_e64 v60, v4, v215
	v_fma_f16 v63, v14, v241, -v63
	v_mul_f16_e64 v14, v14, v175
	v_lshrrev_b32_e32 v4, 16, v128
	v_add_f16_e32 v92, v2, v80
	v_add_f16_e32 v1, v119, v117
	;; [unrolled: 1-line block ×3, first 2 shown]
	v_fmac_f16_e64 v14, v61, v241
	v_mul_f16_e64 v61, v128, v177
	v_add_f16_e32 v117, v89, v60
	v_pack_b32_f16 v0, v0, v1
	v_sub_f16_e32 v2, v2, v80
	v_sub_f16_e32 v3, v3, v87
	v_fmac_f16_e64 v61, v4, v212
	v_mul_f16_e64 v4, v4, v177
	v_sub_f16_e32 v87, v117, v116
	v_lshlrev_b32_e32 v5, 2, v5
	v_lshlrev_b32_e32 v6, 2, v6
	v_add_f16_e32 v115, v61, v14
	v_fma_f16 v4, v128, v212, -v4
	v_sub_f16_e32 v1, v61, v14
	v_sub_f16_e32 v61, v93, v92
	v_add_nc_u32_e32 v17, 0x800, v5
	v_add_f16_e32 v118, v116, v115
	v_add_f16_e32 v90, v4, v63
	v_sub_f16_e32 v80, v115, v117
	v_add_nc_u32_e32 v216, 0x1000, v6
	scratch_store_b32 off, v17, off offset:400 ; 4-byte Folded Spill
	v_add_f16_e32 v118, v117, v118
	v_add_f16_e32 v113, v92, v90
	v_sub_f16_e32 v14, v92, v90
	v_mul_f16_e32 v80, 0x3a52, v80
	v_and_b32_e32 v79, 0xffff, v79
	v_add_f16_e32 v114, v118, v114
	v_add_f16_e32 v113, v93, v113
	v_and_b32_e32 v15, 0xffff, v15
	s_delay_alu instid0(VALU_DEP_3) | instskip(NEXT) | instid1(VALU_DEP_3)
	v_lshlrev_b32_e32 v119, 16, v114
	v_add_f16_e32 v62, v113, v62
	v_fmac_f16_e32 v114, 0xbcab, v118
	s_delay_alu instid0(VALU_DEP_4) | instskip(NEXT) | instid1(VALU_DEP_3)
	v_lshlrev_b32_e32 v15, 2, v15
	v_and_b32_e32 v120, 0xffff, v62
	v_fmac_f16_e32 v62, 0xbcab, v113
	v_fmamk_f16 v113, v87, 0x2b26, v80
	s_delay_alu instid0(VALU_DEP_4) | instskip(NEXT) | instid1(VALU_DEP_4)
	v_add_nc_u32_e32 v185, 0x2000, v15
	v_or_b32_e32 v119, v119, v120
	s_delay_alu instid0(VALU_DEP_3)
	v_add_f16_e32 v113, v113, v114
	ds_store_2addr_b32 v253, v0, v119 offset0:38 offset1:87
	v_sub_f16_e32 v0, v4, v63
	v_sub_f16_e32 v4, v7, v88
	;; [unrolled: 1-line block ×5, first 2 shown]
	s_delay_alu instid0(VALU_DEP_4) | instskip(SKIP_1) | instid1(VALU_DEP_4)
	v_add_f16_e32 v88, v4, v2
	v_sub_f16_e32 v89, v4, v2
	v_mul_f16_e32 v60, 0x3a52, v60
	v_sub_f16_e32 v4, v0, v4
	v_sub_f16_e32 v2, v2, v0
	v_add_f16_e32 v0, v88, v0
	v_add_f16_e32 v88, v7, v3
	v_sub_f16_e32 v90, v7, v3
	v_sub_f16_e32 v3, v3, v1
	v_fmamk_f16 v93, v61, 0x2b26, v60
	v_mul_f16_e32 v61, 0x2b26, v61
	v_sub_f16_e32 v7, v1, v7
	v_add_f16_e32 v1, v88, v1
	v_mul_f16_e32 v88, 0xb846, v89
	v_mul_f16_e32 v89, 0xb846, v90
	;; [unrolled: 1-line block ×3, first 2 shown]
	v_fma_f16 v60, v14, 0xb9e0, -v60
	v_fma_f16 v14, v14, 0x39e0, -v61
	v_mul_f16_e32 v61, 0x2b26, v87
	v_mul_f16_e32 v90, 0xbb00, v2
	v_fmac_f16_e32 v92, 0xb574, v7
	v_fmamk_f16 v7, v7, 0x3574, v89
	v_fma_f16 v3, v3, 0x3b00, -v89
	v_fma_f16 v61, v63, 0x39e0, -v61
	;; [unrolled: 1-line block ×3, first 2 shown]
	v_fmac_f16_e32 v90, 0xb574, v4
	v_fmamk_f16 v4, v4, 0x3574, v88
	v_fmac_f16_e32 v7, 0x370e, v1
	v_fmac_f16_e32 v92, 0x370e, v1
	v_add_f16_e32 v14, v14, v62
	v_fmac_f16_e32 v3, 0x370e, v1
	v_add_f16_e32 v1, v61, v114
	v_fmac_f16_e32 v2, 0x370e, v0
	v_fmac_f16_e32 v4, 0x370e, v0
	v_fma_f16 v80, v63, 0xb9e0, -v80
	v_fmac_f16_e32 v90, 0x370e, v0
	v_sub_f16_e32 v0, v14, v3
	v_add_f16_e32 v3, v3, v14
	v_add_f16_e32 v14, v2, v1
	v_sub_f16_e32 v1, v1, v2
	v_add_f16_e32 v93, v93, v62
	v_add_f16_e32 v60, v60, v62
	;; [unrolled: 1-line block ×3, first 2 shown]
	v_pack_b32_f16 v0, v0, v14
	v_pack_b32_f16 v1, v3, v1
	v_sub_f16_e32 v2, v93, v7
	v_add_f16_e32 v3, v4, v113
	v_add_f16_e32 v115, v7, v93
	v_sub_f16_e32 v116, v113, v4
	ds_store_2addr_b32 v238, v0, v1 offset0:106 offset1:155
	v_sub_f16_e32 v0, v60, v92
	v_add_f16_e32 v1, v90, v80
	v_lshrrev_b32_e32 v14, 16, v133
	v_pack_b32_f16 v115, v115, v116
	v_add_f16_e32 v116, v92, v60
	v_sub_f16_e32 v117, v80, v90
	v_pack_b32_f16 v0, v0, v1
	v_pack_b32_f16 v1, v2, v3
	v_lshrrev_b32_e32 v3, 16, v131
	v_lshrrev_b32_e32 v89, 16, v136
	v_pack_b32_f16 v116, v116, v117
	ds_store_2addr_b32 v181, v0, v1 offset0:76 offset1:125
	v_lshrrev_b32_e32 v0, 16, v129
	v_lshrrev_b32_e32 v16, 16, v111
	;; [unrolled: 1-line block ×4, first 2 shown]
	s_delay_alu instid0(VALU_DEP_3) | instskip(NEXT) | instid1(VALU_DEP_3)
	v_mul_f16_e64 v61, v133, v16
	v_mul_f16_e32 v1, v0, v2
	v_mul_f16_e64 v2, v129, v2
	s_delay_alu instid0(VALU_DEP_4)
	v_mul_f16_e32 v4, v3, v7
	v_mul_f16_e64 v7, v131, v7
	v_mul_f16_e32 v60, v14, v16
	v_fmac_f16_e32 v61, v14, v111
	v_lshrrev_b32_e32 v14, 16, v112
	v_fmac_f16_e32 v2, v0, v56
	v_fmac_f16_e32 v7, v3, v58
	v_lshrrev_b32_e32 v0, 16, v142
	v_fma_f16 v1, v129, v56, -v1
	v_mul_f16_e64 v3, v142, v14
	v_fma_f16 v60, v133, v111, -v60
	v_fma_f16 v4, v131, v58, -v4
	v_mov_b32_e32 v16, v5
	ds_store_2addr_b32 v253, v115, v116 offset0:136 offset1:185
	v_fmac_f16_e32 v3, v0, v112
	v_mul_f16_e32 v0, v0, v14
	v_lshrrev_b32_e32 v18, 16, v50
	v_lshrrev_b32_e32 v249, 16, v51
	;; [unrolled: 1-line block ×3, first 2 shown]
	v_add_f16_e32 v63, v2, v3
	v_fma_f16 v0, v142, v112, -v0
	v_sub_f16_e32 v80, v2, v3
	v_lshrrev_b32_e32 v2, 16, v57
	v_lshrrev_b32_e32 v235, 16, v47
	;; [unrolled: 1-line block ×3, first 2 shown]
	v_add_f16_e32 v14, v1, v0
	v_sub_f16_e32 v62, v1, v0
	v_lshrrev_b32_e32 v0, 16, v138
	v_mul_f16_e64 v1, v138, v2
	v_lshrrev_b32_e32 v227, 16, v46
	v_lshrrev_b32_e32 v202, 16, v40
	;; [unrolled: 1-line block ×4, first 2 shown]
	v_fmac_f16_e32 v1, v0, v57
	v_mul_f16_e32 v0, v0, v2
	v_lshrrev_b32_e32 v2, 16, v59
	v_lshrrev_b32_e32 v224, 16, v103
	;; [unrolled: 1-line block ×3, first 2 shown]
	v_add_f16_e32 v88, v1, v61
	v_fma_f16 v0, v138, v57, -v0
	v_sub_f16_e32 v61, v1, v61
	v_mul_f16_e64 v1, v140, v2
	s_delay_alu instid0(VALU_DEP_3) | instskip(SKIP_2) | instid1(VALU_DEP_3)
	v_add_f16_e32 v87, v0, v60
	v_sub_f16_e32 v60, v0, v60
	v_lshrrev_b32_e32 v0, 16, v140
	v_sub_f16_e32 v5, v87, v14
	s_delay_alu instid0(VALU_DEP_2) | instskip(SKIP_1) | instid1(VALU_DEP_2)
	v_fmac_f16_e32 v1, v0, v59
	v_mul_f16_e32 v0, v0, v2
	v_add_f16_e32 v3, v7, v1
	s_delay_alu instid0(VALU_DEP_2) | instskip(SKIP_2) | instid1(VALU_DEP_3)
	v_fma_f16 v0, v140, v59, -v0
	v_sub_f16_e32 v1, v1, v7
	v_add_f16_e32 v7, v88, v63
	v_add_f16_e32 v2, v4, v0
	v_sub_f16_e32 v0, v0, v4
	v_add_f16_e32 v4, v87, v14
	s_delay_alu instid0(VALU_DEP_4)
	v_add_f16_e32 v7, v3, v7
	v_sub_f16_e32 v115, v1, v61
	v_sub_f16_e32 v116, v80, v1
	;; [unrolled: 1-line block ×3, first 2 shown]
	v_add_f16_e32 v4, v2, v4
	v_add_f16_e32 v89, v7, v89
	v_sub_f16_e32 v114, v62, v0
	v_mul_f16_e32 v115, 0xb846, v115
	v_mul_f16_e32 v113, 0xb846, v113
	v_add_f16_e64 v90, v4, v136
	v_lshlrev_b32_e32 v92, 16, v89
	v_fmac_f16_e32 v89, 0xbcab, v7
	v_sub_f16_e32 v7, v2, v87
	s_delay_alu instid0(VALU_DEP_4)
	v_and_b32_e32 v93, 0xffff, v90
	v_fmac_f16_e32 v90, 0xbcab, v4
	v_sub_f16_e32 v4, v14, v2
	v_sub_f16_e32 v2, v63, v3
	;; [unrolled: 1-line block ×3, first 2 shown]
	v_or_b32_e32 v92, v92, v93
	v_sub_f16_e32 v93, v3, v88
	v_add_f16_e32 v3, v0, v60
	v_add_f16_e32 v0, v1, v61
	v_mul_f16_e32 v4, 0x3a52, v4
	v_sub_f16_e32 v60, v60, v62
	v_sub_f16_e32 v61, v61, v80
	v_add_f16_e32 v117, v3, v62
	v_add_f16_e32 v118, v0, v80
	v_fmamk_f16 v0, v7, 0x2b26, v4
	v_mul_f16_e32 v7, 0x2b26, v7
	v_mul_f16_e32 v119, 0x3a52, v2
	v_fma_f16 v4, v5, 0xb9e0, -v4
	v_fma_f16 v62, v60, 0x3b00, -v113
	v_mul_f16_e32 v60, 0xbb00, v60
	v_fma_f16 v7, v5, 0x39e0, -v7
	v_mul_f16_e32 v5, 0x2b26, v93
	;; [unrolled: 2-line block ×3, first 2 shown]
	v_fmamk_f16 v1, v93, 0x2b26, v119
	v_fmamk_f16 v2, v116, 0x3574, v115
	;; [unrolled: 1-line block ×3, first 2 shown]
	v_fma_f16 v5, v14, 0x39e0, -v5
	v_fma_f16 v14, v14, 0xb9e0, -v119
	v_fmac_f16_e32 v60, 0xb574, v114
	v_fmac_f16_e32 v61, 0xb574, v116
	v_add_f16_e32 v0, v0, v90
	v_add_f16_e32 v1, v1, v89
	v_fmac_f16_e32 v2, 0x370e, v118
	v_fmac_f16_e32 v3, 0x370e, v117
	v_add_f16_e32 v4, v4, v90
	v_add_f16_e32 v14, v14, v89
	v_fmac_f16_e32 v60, 0x370e, v117
	v_fmac_f16_e32 v61, 0x370e, v118
	v_add_f16_e32 v120, v2, v0
	v_sub_f16_e32 v121, v1, v3
	v_add_f16_e32 v7, v7, v90
	v_add_f16_e32 v5, v5, v89
	v_fmac_f16_e32 v62, 0x370e, v117
	v_fmac_f16_e32 v63, 0x370e, v118
	v_add_f16_e32 v80, v61, v4
	v_sub_f16_e32 v87, v14, v60
	v_pack_b32_f16 v120, v120, v121
	v_add_f16_e32 v88, v62, v5
	v_sub_f16_e32 v5, v5, v62
	v_sub_f16_e32 v4, v4, v61
	v_pack_b32_f16 v80, v80, v87
	v_sub_f16_e32 v87, v7, v63
	v_add_f16_e32 v7, v63, v7
	v_add_f16_e32 v14, v60, v14
	ds_store_2addr_b32 v17, v92, v120 offset0:174 offset1:223
	v_add_nc_u32_e32 v17, 0xc00, v16
	v_pack_b32_f16 v87, v87, v88
	v_pack_b32_f16 v5, v7, v5
	;; [unrolled: 1-line block ×3, first 2 shown]
	s_clause 0x1
	scratch_store_b32 off, v17, off offset:404
	scratch_store_b32 off, v16, off offset:440
	ds_store_2addr_b32 v17, v80, v87 offset0:16 offset1:65
	v_lshrrev_b32_e32 v14, 16, v141
	ds_store_2addr_b32 v17, v5, v4 offset0:114 offset1:163
	v_lshrrev_b32_e32 v17, 16, v55
	v_lshrrev_b32_e32 v4, 16, v139
	v_lshrrev_b32_e32 v7, 16, v53
	v_lshrrev_b32_e32 v62, 16, v143
	v_lshrrev_b32_e32 v92, 16, v137
	v_mul_f16_e32 v60, v14, v17
	v_mul_f16_e64 v61, v141, v17
	v_lshrrev_b32_e32 v17, 16, v110
	v_mul_f16_e32 v5, v4, v7
	v_mul_f16_e64 v7, v139, v7
	v_fma_f16 v60, v141, v55, -v60
	v_fmac_f16_e32 v61, v14, v55
	v_mul_f16_e32 v63, v62, v17
	v_mul_f16_e64 v80, v143, v17
	v_lshrrev_b32_e32 v17, 16, v52
	v_fmac_f16_e32 v7, v4, v53
	v_lshrrev_b32_e32 v4, 16, v144
	v_fma_f16 v63, v143, v110, -v63
	v_fmac_f16_e32 v80, v62, v110
	v_mul_f16_e64 v14, v144, v17
	v_fma_f16 v5, v139, v53, -v5
	v_sub_f16_e32 v0, v0, v2
	v_add_f16_e32 v1, v3, v1
	s_delay_alu instid0(VALU_DEP_4) | instskip(SKIP_2) | instid1(VALU_DEP_4)
	v_fmac_f16_e32 v14, v4, v52
	v_mul_f16_e32 v4, v4, v17
	v_lshrrev_b32_e32 v17, 16, v109
	v_pack_b32_f16 v0, v0, v1
	s_delay_alu instid0(VALU_DEP_3) | instskip(NEXT) | instid1(VALU_DEP_3)
	v_fma_f16 v4, v144, v52, -v4
	v_mul_f16_e64 v87, v148, v17
	s_delay_alu instid0(VALU_DEP_2) | instskip(SKIP_4) | instid1(VALU_DEP_1)
	v_add_f16_e32 v62, v4, v63
	v_sub_f16_e32 v4, v4, v63
	v_add_f16_e32 v63, v14, v80
	v_sub_f16_e32 v14, v14, v80
	v_lshrrev_b32_e32 v80, 16, v148
	v_fmac_f16_e32 v87, v80, v109
	v_mul_f16_e32 v80, v80, v17
	v_lshrrev_b32_e32 v17, 16, v54
	s_delay_alu instid0(VALU_DEP_2) | instskip(NEXT) | instid1(VALU_DEP_2)
	v_fma_f16 v80, v148, v109, -v80
	v_mul_f16_e64 v89, v146, v17
	s_delay_alu instid0(VALU_DEP_2) | instskip(SKIP_4) | instid1(VALU_DEP_3)
	v_add_f16_e32 v88, v5, v80
	v_sub_f16_e32 v5, v5, v80
	v_add_f16_e32 v80, v7, v87
	v_sub_f16_e32 v7, v7, v87
	v_lshrrev_b32_e32 v87, 16, v146
	v_add_f16_e32 v113, v80, v63
	s_delay_alu instid0(VALU_DEP_2) | instskip(SKIP_3) | instid1(VALU_DEP_3)
	v_fmac_f16_e32 v89, v87, v54
	v_mul_f16_e32 v87, v87, v17
	v_mov_b32_e32 v17, v6
	v_sub_f16_e32 v6, v88, v62
	v_fma_f16 v87, v146, v54, -v87
	s_delay_alu instid0(VALU_DEP_1) | instskip(SKIP_4) | instid1(VALU_DEP_4)
	v_add_f16_e32 v90, v87, v60
	v_sub_f16_e32 v60, v60, v87
	v_add_f16_e32 v87, v89, v61
	v_sub_f16_e32 v61, v61, v89
	;; [unrolled: 2-line block ×3, first 2 shown]
	s_delay_alu instid0(VALU_DEP_4) | instskip(NEXT) | instid1(VALU_DEP_4)
	v_add_f16_e32 v113, v87, v113
	v_sub_f16_e32 v118, v61, v7
	s_delay_alu instid0(VALU_DEP_4)
	v_add_f16_e32 v89, v90, v89
	v_add_f16_e32 v117, v61, v7
	v_mul_f16_e32 v116, 0xb846, v116
	v_add_f16_e32 v92, v113, v92
	v_mul_f16_e32 v118, 0xb846, v118
	v_add_f16_e64 v93, v89, v137
	v_sub_f16_e32 v61, v14, v61
	v_add_f16_e32 v117, v117, v14
	v_lshlrev_b32_e32 v114, 16, v92
	v_fmac_f16_e32 v92, 0xbcab, v113
	v_and_b32_e32 v115, 0xffff, v93
	v_fmac_f16_e32 v93, 0xbcab, v89
	v_sub_f16_e32 v89, v62, v90
	v_sub_f16_e32 v90, v90, v88
	;; [unrolled: 1-line block ×3, first 2 shown]
	v_or_b32_e32 v114, v114, v115
	v_add_f16_e32 v115, v60, v5
	v_sub_f16_e32 v60, v4, v60
	v_sub_f16_e32 v87, v87, v80
	;; [unrolled: 1-line block ×3, first 2 shown]
	v_mul_f16_e32 v89, 0x3a52, v89
	v_add_f16_e32 v115, v115, v4
	v_sub_f16_e32 v4, v5, v4
	v_sub_f16_e32 v5, v7, v14
	v_mul_f16_e32 v113, 0x3a52, v113
	v_fmamk_f16 v122, v60, 0x3574, v116
	v_mul_f16_e32 v7, 0x2b26, v90
	v_fma_f16 v63, v4, 0x3b00, -v116
	v_mul_f16_e32 v4, 0xbb00, v4
	v_mul_f16_e32 v14, 0x2b26, v87
	v_fmamk_f16 v121, v61, 0x3574, v118
	v_fma_f16 v7, v6, 0x39e0, -v7
	v_fma_f16 v6, v6, 0xb9e0, -v89
	v_fmac_f16_e32 v4, 0xb574, v60
	v_fma_f16 v60, v5, 0x3b00, -v118
	v_mul_f16_e32 v5, 0xbb00, v5
	v_fma_f16 v14, v62, 0x39e0, -v14
	v_fma_f16 v62, v62, 0xb9e0, -v113
	v_add_f16_e32 v6, v6, v93
	v_fmac_f16_e32 v4, 0x370e, v115
	v_fmac_f16_e32 v5, 0xb574, v61
	v_add_f16_e32 v7, v7, v93
	v_add_f16_e32 v61, v62, v92
	v_add_f16_e32 v14, v14, v92
	v_fmac_f16_e32 v63, 0x370e, v115
	v_fmac_f16_e32 v5, 0x370e, v117
	;; [unrolled: 1-line block ×3, first 2 shown]
	v_sub_f16_e32 v80, v61, v4
	v_fmamk_f16 v120, v87, 0x2b26, v113
	v_add_f16_e32 v87, v63, v14
	v_add_f16_e32 v62, v5, v6
	v_sub_f16_e32 v14, v14, v63
	v_sub_f16_e32 v5, v6, v5
	v_add_f16_e32 v4, v4, v61
	v_lshrrev_b32_e32 v61, 16, v149
	v_pack_b32_f16 v62, v62, v80
	v_sub_f16_e32 v80, v7, v60
	v_add_f16_e32 v7, v60, v7
	v_pack_b32_f16 v4, v5, v4
	v_mul_f16_e64 v60, v147, v18
	v_lshrrev_b32_e32 v88, 16, v70
	v_pack_b32_f16 v80, v80, v87
	v_pack_b32_f16 v6, v7, v14
	v_lshrrev_b32_e32 v7, 16, v147
	v_fmamk_f16 v119, v90, 0x2b26, v89
	v_add_f16_e32 v120, v120, v92
	ds_store_2addr_b32 v216, v62, v80 offset0:103 offset1:152
	ds_store_2addr_b32 v216, v6, v4 offset0:201 offset1:250
	v_lshrrev_b32_e32 v4, 16, v145
	v_lshrrev_b32_e32 v6, 16, v48
	v_mul_f16_e32 v14, v7, v18
	v_lshrrev_b32_e32 v18, 16, v107
	v_fmac_f16_e32 v60, v7, v50
	v_mul_f16_e64 v80, v74, v249
	v_mul_f16_e32 v5, v4, v6
	v_mul_f16_e64 v6, v145, v6
	v_mul_f16_e32 v62, v61, v18
	v_mul_f16_e64 v63, v149, v18
	v_lshrrev_b32_e32 v18, 16, v108
	v_fma_f16 v5, v145, v48, -v5
	v_fmac_f16_e32 v6, v4, v48
	v_lshrrev_b32_e32 v4, 16, v72
	v_fmac_f16_e32 v63, v61, v107
	v_mul_f16_e32 v7, v72, v18
	v_fma_f16 v62, v149, v107, -v62
	v_fma_f16 v14, v147, v50, -v14
	v_add_f16_e32 v119, v119, v93
	v_fmac_f16_e32 v121, 0x370e, v117
	v_fmac_f16_e32 v7, v4, v108
	v_mul_f16_e32 v4, v4, v18
	v_lshrrev_b32_e32 v18, 16, v49
	v_fmac_f16_e32 v122, 0x370e, v115
	v_add_f16_e32 v123, v121, v119
	v_sub_f16_e32 v2, v119, v121
	v_fma_f16 v4, v72, v108, -v4
	v_mul_f16_e32 v72, v76, v18
	v_sub_f16_e32 v124, v120, v122
	v_add_f16_e32 v3, v122, v120
	s_delay_alu instid0(VALU_DEP_4)
	v_add_f16_e32 v61, v5, v4
	v_sub_f16_e32 v4, v5, v4
	v_add_f16_e32 v5, v6, v7
	v_sub_f16_e32 v6, v6, v7
	v_lshrrev_b32_e32 v7, 16, v76
	v_pack_b32_f16 v123, v123, v124
	v_pack_b32_f16 v1, v2, v3
	s_delay_alu instid0(VALU_DEP_3) | instskip(SKIP_4) | instid1(VALU_DEP_2)
	v_fmac_f16_e32 v72, v7, v49
	v_mul_f16_e32 v7, v7, v18
	ds_store_2addr_b32 v216, v114, v123 offset0:5 offset1:54
	v_lshlrev_b32_e32 v18, 2, v91
	v_fma_f16 v7, v76, v49, -v7
	v_add_nc_u32_e32 v19, 0x1400, v18
	scratch_store_b32 off, v17, off offset:436 ; 4-byte Folded Spill
	v_add_f16_e32 v76, v7, v62
	v_sub_f16_e32 v7, v7, v62
	scratch_store_b32 off, v19, off offset:412 ; 4-byte Folded Spill
	v_add_f16_e32 v62, v72, v63
	v_sub_f16_e32 v63, v72, v63
	v_lshrrev_b32_e32 v72, 16, v74
	s_delay_alu instid0(VALU_DEP_3) | instskip(NEXT) | instid1(VALU_DEP_2)
	v_add_f16_e32 v87, v62, v5
	v_fmac_f16_e32 v80, v72, v51
	v_mul_f16_e64 v72, v72, v249
	s_delay_alu instid0(VALU_DEP_1) | instskip(NEXT) | instid1(VALU_DEP_1)
	v_fma_f16 v72, v74, v51, -v72
	v_add_f16_e32 v74, v14, v72
	v_sub_f16_e32 v14, v72, v14
	v_add_f16_e32 v72, v60, v80
	v_sub_f16_e32 v60, v80, v60
	v_add_f16_e32 v80, v76, v61
	s_delay_alu instid0(VALU_DEP_4) | instskip(NEXT) | instid1(VALU_DEP_4)
	v_sub_f16_e32 v92, v14, v7
	v_add_f16_e32 v87, v72, v87
	s_delay_alu instid0(VALU_DEP_4) | instskip(NEXT) | instid1(VALU_DEP_4)
	v_add_f16_e32 v93, v60, v63
	v_add_f16_e32 v80, v74, v80
	v_sub_f16_e32 v113, v60, v63
	v_mul_f16_e32 v92, 0xb846, v92
	v_add_f16_e32 v88, v87, v88
	v_sub_f16_e32 v60, v6, v60
	v_add_f16_e32 v70, v80, v70
	v_add_f16_e32 v93, v93, v6
	v_mul_f16_e32 v113, 0xb846, v113
	v_lshlrev_b32_e32 v89, 16, v88
	v_fmac_f16_e32 v88, 0xbcab, v87
	v_and_b32_e32 v90, 0xffff, v70
	v_fmac_f16_e32 v70, 0xbcab, v80
	v_sub_f16_e32 v80, v61, v74
	v_sub_f16_e32 v74, v74, v76
	;; [unrolled: 1-line block ×3, first 2 shown]
	v_or_b32_e32 v89, v89, v90
	v_add_f16_e32 v90, v14, v7
	v_sub_f16_e32 v14, v4, v14
	v_sub_f16_e32 v72, v72, v62
	;; [unrolled: 1-line block ×3, first 2 shown]
	v_mul_f16_e32 v80, 0x3a52, v80
	v_add_f16_e32 v90, v90, v4
	v_sub_f16_e32 v4, v7, v4
	v_mul_f16_e32 v87, 0x3a52, v87
	v_fmamk_f16 v117, v14, 0x3574, v92
	v_sub_f16_e32 v61, v76, v61
	v_sub_f16_e32 v5, v62, v5
	v_fma_f16 v63, v4, 0x3b00, -v92
	v_mul_f16_e32 v4, 0xbb00, v4
	v_mul_f16_e32 v7, 0x2b26, v74
	;; [unrolled: 1-line block ×3, first 2 shown]
	v_fmamk_f16 v114, v74, 0x2b26, v80
	v_fmamk_f16 v115, v72, 0x2b26, v87
	v_fmac_f16_e32 v4, 0xb574, v14
	v_fma_f16 v14, v6, 0x3b00, -v113
	v_mul_f16_e32 v6, 0xbb00, v6
	v_fma_f16 v7, v61, 0x39e0, -v7
	v_fma_f16 v61, v61, 0xb9e0, -v80
	;; [unrolled: 1-line block ×4, first 2 shown]
	v_fmac_f16_e32 v6, 0xb574, v60
	v_fmamk_f16 v116, v60, 0x3574, v113
	v_add_f16_e32 v60, v61, v70
	v_fmac_f16_e32 v4, 0x370e, v90
	v_add_f16_e32 v5, v5, v88
	v_fmac_f16_e32 v6, 0x370e, v93
	v_add_f16_e32 v114, v114, v70
	v_add_f16_e32 v115, v115, v88
	v_fmac_f16_e32 v116, 0x370e, v93
	v_fmac_f16_e32 v117, 0x370e, v90
	v_add_f16_e32 v7, v7, v70
	v_add_f16_e32 v61, v62, v88
	v_fmac_f16_e32 v63, 0x370e, v90
	v_fmac_f16_e32 v14, 0x370e, v93
	v_add_f16_e32 v62, v6, v60
	v_sub_f16_e32 v70, v5, v4
	v_add_f16_e32 v118, v116, v114
	v_sub_f16_e32 v123, v115, v117
	;; [unrolled: 2-line block ×3, first 2 shown]
	v_pack_b32_f16 v62, v62, v70
	v_sub_f16_e32 v70, v7, v14
	v_add_f16_e32 v7, v14, v7
	v_sub_f16_e32 v14, v61, v63
	v_add_f16_e32 v4, v4, v5
	v_pack_b32_f16 v118, v118, v123
	v_pack_b32_f16 v70, v70, v72
	v_mul_f16_e64 v60, v75, v235
	v_pack_b32_f16 v5, v7, v14
	v_pack_b32_f16 v4, v6, v4
	v_add_nc_u32_e32 v6, 0x1800, v18
	ds_store_2addr_b32 v19, v89, v118 offset0:92 offset1:141
	ds_store_2addr_b32 v19, v62, v70 offset0:190 offset1:239
	s_clause 0x1
	scratch_store_b32 off, v6, off offset:408
	scratch_store_b32 off, v18, off offset:432
	ds_store_2addr_b32 v6, v5, v4 offset0:32 offset1:81
	v_lshrrev_b32_e32 v4, 16, v77
	v_mul_f16_e64 v6, v77, v234
	v_lshrrev_b32_e32 v7, 16, v75
	v_lshrrev_b32_e32 v61, 16, v73
	;; [unrolled: 1-line block ×3, first 2 shown]
	v_mul_f16_e64 v5, v4, v234
	v_fmac_f16_e32 v6, v4, v45
	v_mul_f16_e64 v14, v7, v235
	v_fmac_f16_e32 v60, v7, v47
	v_lshrrev_b32_e32 v4, 16, v68
	v_mul_f16_e64 v7, v68, v229
	v_mul_f16_e32 v62, v61, v19
	v_mul_f16_e32 v63, v73, v19
	v_lshrrev_b32_e32 v19, 16, v105
	v_fma_f16 v5, v77, v45, -v5
	v_fmac_f16_e32 v7, v4, v44
	v_mul_f16_e64 v4, v4, v229
	v_fma_f16 v62, v73, v106, -v62
	v_fmac_f16_e32 v63, v61, v106
	v_mul_f16_e64 v70, v66, v227
	v_fma_f16 v14, v75, v47, -v14
	v_fma_f16 v4, v68, v44, -v4
	v_mul_f16_e32 v68, v64, v19
	v_lshrrev_b32_e32 v72, 16, v71
	s_delay_alu instid0(VALU_DEP_3) | instskip(SKIP_4) | instid1(VALU_DEP_1)
	v_add_f16_e32 v61, v4, v62
	v_sub_f16_e32 v4, v4, v62
	v_add_f16_e32 v62, v7, v63
	v_sub_f16_e32 v7, v7, v63
	v_lshrrev_b32_e32 v63, 16, v64
	v_fmac_f16_e32 v68, v63, v105
	v_mul_f16_e32 v63, v63, v19
	v_lshlrev_b32_e32 v19, 2, v79
	s_delay_alu instid0(VALU_DEP_2) | instskip(NEXT) | instid1(VALU_DEP_2)
	v_fma_f16 v63, v64, v105, -v63
	v_add_nc_u32_e32 v79, 0x1800, v19
	s_delay_alu instid0(VALU_DEP_2)
	v_add_f16_e32 v64, v5, v63
	v_sub_f16_e32 v5, v5, v63
	v_add_f16_e32 v63, v6, v68
	v_sub_f16_e32 v6, v6, v68
	v_lshrrev_b32_e32 v68, 16, v66
	scratch_store_b32 off, v79, off offset:416 ; 4-byte Folded Spill
	v_add_f16_e32 v73, v63, v62
	v_fmac_f16_e32 v70, v68, v46
	v_mul_f16_e64 v68, v68, v227
	s_delay_alu instid0(VALU_DEP_1) | instskip(NEXT) | instid1(VALU_DEP_1)
	v_fma_f16 v66, v66, v46, -v68
	v_add_f16_e32 v68, v66, v14
	v_sub_f16_e32 v14, v14, v66
	v_add_f16_e32 v66, v70, v60
	v_sub_f16_e32 v60, v60, v70
	v_add_f16_e32 v70, v64, v61
	s_delay_alu instid0(VALU_DEP_4) | instskip(NEXT) | instid1(VALU_DEP_4)
	v_sub_f16_e32 v76, v14, v5
	v_add_f16_e32 v73, v66, v73
	s_delay_alu instid0(VALU_DEP_4) | instskip(NEXT) | instid1(VALU_DEP_4)
	v_sub_f16_e32 v80, v60, v6
	v_add_f16_e32 v70, v68, v70
	v_add_f16_e32 v77, v60, v6
	v_mul_f16_e32 v76, 0xb846, v76
	v_add_f16_e32 v72, v73, v72
	v_mul_f16_e32 v80, 0xb846, v80
	v_add_f16_e32 v71, v70, v71
	v_sub_f16_e32 v60, v7, v60
	v_add_f16_e32 v77, v77, v7
	v_lshlrev_b32_e32 v74, 16, v72
	v_fmac_f16_e32 v72, 0xbcab, v73
	v_and_b32_e32 v75, 0xffff, v71
	v_fmac_f16_e32 v71, 0xbcab, v70
	v_sub_f16_e32 v70, v61, v68
	v_sub_f16_e32 v68, v68, v64
	v_sub_f16_e32 v73, v62, v66
	v_or_b32_e32 v74, v74, v75
	v_add_f16_e32 v75, v14, v5
	v_sub_f16_e32 v14, v4, v14
	v_sub_f16_e32 v66, v66, v63
	v_mul_f16_e32 v70, 0x3a52, v70
	v_sub_f16_e32 v61, v64, v61
	v_add_f16_e32 v75, v75, v4
	v_sub_f16_e32 v4, v5, v4
	v_sub_f16_e32 v62, v63, v62
	;; [unrolled: 1-line block ×3, first 2 shown]
	v_mul_f16_e32 v6, 0x2b26, v68
	v_mul_f16_e32 v73, 0x3a52, v73
	v_fma_f16 v63, v4, 0x3b00, -v76
	v_mul_f16_e32 v4, 0xbb00, v4
	v_fmamk_f16 v90, v14, 0x3574, v76
	v_fma_f16 v6, v61, 0x39e0, -v6
	v_fma_f16 v7, v61, 0xb9e0, -v70
	v_mul_f16_e32 v61, 0x2b26, v66
	v_fmac_f16_e32 v4, 0xb574, v14
	v_fma_f16 v14, v5, 0x3b00, -v80
	v_mul_f16_e32 v5, 0xbb00, v5
	v_fmamk_f16 v87, v68, 0x2b26, v70
	v_fma_f16 v61, v62, 0x39e0, -v61
	v_fma_f16 v62, v62, 0xb9e0, -v73
	v_fmamk_f16 v88, v66, 0x2b26, v73
	v_fmac_f16_e32 v5, 0xb574, v60
	v_fmamk_f16 v89, v60, 0x3574, v80
	v_add_f16_e32 v7, v7, v71
	v_add_f16_e32 v60, v61, v72
	;; [unrolled: 1-line block ×3, first 2 shown]
	v_fmac_f16_e32 v4, 0x370e, v75
	v_fmac_f16_e32 v5, 0x370e, v77
	v_add_f16_e32 v87, v87, v71
	v_add_f16_e32 v88, v88, v72
	v_fmac_f16_e32 v89, 0x370e, v77
	v_fmac_f16_e32 v90, 0x370e, v75
	v_add_f16_e32 v6, v6, v71
	v_fmac_f16_e32 v63, 0x370e, v75
	v_fmac_f16_e32 v14, 0x370e, v77
	v_add_f16_e32 v62, v5, v7
	v_sub_f16_e32 v64, v61, v4
	v_add_f16_e32 v91, v89, v87
	v_sub_f16_e32 v92, v88, v90
	;; [unrolled: 2-line block ×3, first 2 shown]
	v_pack_b32_f16 v62, v62, v64
	v_sub_f16_e32 v64, v6, v14
	v_add_f16_e32 v6, v14, v6
	v_sub_f16_e32 v14, v60, v63
	v_add_f16_e32 v4, v4, v61
	v_pack_b32_f16 v91, v91, v92
	v_pack_b32_f16 v64, v64, v66
	v_add_nc_u32_e32 v66, 0x1c00, v19
	v_pack_b32_f16 v6, v6, v14
	v_pack_b32_f16 v4, v5, v4
	v_lshrrev_b32_e32 v7, 16, v12
	ds_store_2addr_b32 v79, v74, v91 offset0:179 offset1:228
	s_clause 0x1
	scratch_store_b32 off, v66, off offset:420
	scratch_store_b32 off, v19, off offset:424
	ds_store_2addr_b32 v66, v62, v64 offset0:21 offset1:70
	ds_store_2addr_b32 v66, v6, v4 offset0:119 offset1:168
	v_lshrrev_b32_e32 v4, 16, v69
	v_mul_f16_e64 v6, v69, v202
	v_mul_f16_e64 v14, v7, v203
	v_lshrrev_b32_e32 v60, 16, v67
	v_mul_f16_e64 v62, v67, v204
	v_mul_f16_e64 v5, v4, v202
	v_fmac_f16_e32 v6, v4, v40
	v_fma_f16 v14, v12, v41, -v14
	v_mul_f16_e64 v12, v12, v203
	v_mul_f16_e64 v61, v60, v204
	v_fmac_f16_e32 v62, v60, v42
	v_lshrrev_b32_e32 v4, 16, v11
	v_lshrrev_b32_e32 v60, 16, v43
	v_fmac_f16_e32 v12, v7, v41
	v_mul_f16_e64 v64, v65, v224
	v_fma_f16 v5, v69, v40, -v5
	v_fma_f16 v61, v67, v42, -v61
	v_mul_f16_e32 v7, v4, v60
	s_delay_alu instid0(VALU_DEP_1) | instskip(SKIP_2) | instid1(VALU_DEP_2)
	v_fma_f16 v7, v11, v43, -v7
	v_mul_f16_e32 v11, v11, v60
	v_lshrrev_b32_e32 v60, 16, v65
	v_fmac_f16_e32 v11, v4, v43
	s_delay_alu instid0(VALU_DEP_2) | instskip(SKIP_1) | instid1(VALU_DEP_2)
	v_mul_f16_e64 v63, v60, v224
	v_fmac_f16_e32 v64, v60, v103
	v_fma_f16 v63, v65, v103, -v63
	v_lshrrev_b32_e32 v65, 16, v13
	s_delay_alu instid0(VALU_DEP_1) | instskip(NEXT) | instid1(VALU_DEP_1)
	v_mul_f16_e64 v66, v65, v225
	v_fma_f16 v66, v13, v104, -v66
	v_mul_f16_e64 v13, v13, v225
	s_delay_alu instid0(VALU_DEP_2) | instskip(NEXT) | instid1(VALU_DEP_2)
	v_add_f16_e32 v4, v5, v66
	v_fmac_f16_e32 v13, v65, v104
	v_sub_f16_e32 v5, v5, v66
	v_lshrrev_b32_e32 v65, 16, v10
	s_delay_alu instid0(VALU_DEP_3)
	v_add_f16_e32 v60, v6, v13
	v_sub_f16_e32 v6, v6, v13
	v_add_f16_e32 v13, v14, v63
	v_sub_f16_e32 v14, v14, v63
	;; [unrolled: 2-line block ×5, first 2 shown]
	v_add_f16_e32 v62, v13, v4
	v_add_f16_e32 v66, v63, v60
	v_sub_f16_e32 v69, v7, v14
	s_delay_alu instid0(VALU_DEP_4) | instskip(NEXT) | instid1(VALU_DEP_4)
	v_sub_f16_e32 v71, v11, v12
	v_add_f16_e32 v62, v64, v62
	s_delay_alu instid0(VALU_DEP_4)
	v_add_f16_e32 v66, v61, v66
	v_add_f16_e32 v70, v11, v12
	v_sub_f16_e32 v11, v6, v11
	v_mul_f16_e32 v69, 0xb846, v69
	v_add_f16_e32 v10, v62, v10
	v_add_f16_e32 v65, v66, v65
	v_mul_f16_e32 v71, 0xb846, v71
	v_add_f16_e32 v70, v70, v6
	v_sub_f16_e32 v6, v12, v6
	v_and_b32_e32 v68, 0xffff, v10
	v_lshlrev_b32_e32 v67, 16, v65
	v_fmac_f16_e32 v10, 0xbcab, v62
	v_fmac_f16_e32 v65, 0xbcab, v66
	v_sub_f16_e32 v62, v4, v64
	v_sub_f16_e32 v66, v60, v61
	v_or_b32_e32 v67, v67, v68
	v_sub_f16_e32 v64, v64, v13
	v_sub_f16_e32 v61, v61, v63
	v_add_f16_e32 v68, v7, v14
	v_sub_f16_e32 v7, v5, v7
	v_mul_f16_e32 v62, 0x3a52, v62
	v_mul_f16_e32 v66, 0x3a52, v66
	v_fmamk_f16 v74, v11, 0x3574, v71
	v_add_f16_e32 v68, v68, v5
	v_fmamk_f16 v75, v7, 0x3574, v69
	v_fmamk_f16 v72, v64, 0x2b26, v62
	;; [unrolled: 1-line block ×3, first 2 shown]
	v_fmac_f16_e32 v74, 0x370e, v70
	v_sub_f16_e32 v5, v14, v5
	v_fmac_f16_e32 v75, 0x370e, v68
	v_add_f16_e32 v72, v72, v10
	v_add_f16_e32 v73, v73, v65
	v_sub_f16_e32 v4, v13, v4
	v_sub_f16_e32 v13, v63, v60
	v_mul_f16_e32 v12, 0x2b26, v64
	v_add_f16_e32 v76, v74, v72
	v_sub_f16_e32 v77, v73, v75
	v_mul_f16_e32 v14, 0x2b26, v61
	s_delay_alu instid0(VALU_DEP_4) | instskip(SKIP_1) | instid1(VALU_DEP_4)
	v_fma_f16 v12, v4, 0x39e0, -v12
	v_fma_f16 v4, v4, 0xb9e0, -v62
	v_pack_b32_f16 v76, v76, v77
	v_mov_b32_e32 v77, v15
	v_fma_f16 v15, v5, 0x3b00, -v69
	v_mul_f16_e32 v5, 0xbb00, v5
	v_fma_f16 v14, v13, 0x39e0, -v14
	v_fma_f16 v13, v13, 0xb9e0, -v66
	v_add_f16_e32 v4, v4, v10
	v_fmac_f16_e32 v15, 0x370e, v68
	v_fmac_f16_e32 v5, 0xb574, v7
	v_fma_f16 v7, v6, 0x3b00, -v71
	v_mul_f16_e32 v6, 0xbb00, v6
	scratch_store_b32 off, v77, off offset:428 ; 4-byte Folded Spill
	ds_store_2addr_b32 v185, v67, v76 offset0:10 offset1:59
	v_fmac_f16_e32 v5, 0x370e, v68
	v_fmac_f16_e32 v7, 0x370e, v70
	;; [unrolled: 1-line block ×3, first 2 shown]
	v_add_f16_e32 v11, v12, v10
	v_add_f16_e32 v12, v13, v65
	;; [unrolled: 1-line block ×3, first 2 shown]
	v_mad_u64_u32 v[64:65], null, v78, 24, s[6:7]
	v_fmac_f16_e32 v6, 0x370e, v70
	s_delay_alu instid0(VALU_DEP_4) | instskip(NEXT) | instid1(VALU_DEP_4)
	v_sub_f16_e32 v14, v12, v5
	v_add_f16_e32 v60, v15, v10
	v_sub_f16_e32 v10, v10, v15
	v_add_f16_e32 v5, v5, v12
	v_add_f16_e32 v13, v6, v4
	v_sub_f16_e32 v4, v4, v6
	s_delay_alu instid0(VALU_DEP_2) | instskip(SKIP_2) | instid1(VALU_DEP_4)
	v_pack_b32_f16 v13, v13, v14
	v_sub_f16_e32 v14, v11, v7
	v_add_f16_e32 v7, v7, v11
	v_pack_b32_f16 v4, v4, v5
	v_add_f16_e32 v5, v117, v115
	v_add_f16_e32 v11, v75, v73
	v_pack_b32_f16 v14, v14, v60
	v_pack_b32_f16 v6, v7, v10
	v_add_f16_e32 v7, v90, v88
	v_sub_f16_e32 v10, v72, v74
	ds_store_2addr_b32 v185, v13, v14 offset0:108 offset1:157
	ds_store_2addr_b32 v185, v6, v4 offset0:206 offset1:255
	v_sub_f16_e32 v4, v114, v116
	v_sub_f16_e32 v6, v87, v89
	s_delay_alu instid0(VALU_DEP_2) | instskip(NEXT) | instid1(VALU_DEP_2)
	v_pack_b32_f16 v2, v4, v5
	v_pack_b32_f16 v3, v6, v7
	;; [unrolled: 1-line block ×3, first 2 shown]
	ds_store_b32 v16, v0 offset:3920
	ds_store_b32 v17, v1 offset:5292
	;; [unrolled: 1-line block ×5, first 2 shown]
	s_waitcnt lgkmcnt(0)
	s_waitcnt_vscnt null, 0x0
	s_barrier
	buffer_gl0_inv
	s_clause 0x1
	global_load_b64 v[242:243], v[8:9], off offset:1360
	global_load_b128 v[152:155], v[8:9], off offset:1344
	ds_load_2addr_b32 v[0:1], v181 offset0:174 offset1:223
	s_clause 0x1
	global_load_b64 v[247:248], v[64:65], off offset:1360
	global_load_b128 v[191:194], v[64:65], off offset:1344
	ds_load_2addr_b32 v[123:124], v253 offset0:38 offset1:87
	ds_load_2addr_b32 v[113:114], v251 offset1:49
	ds_load_2addr_b32 v[68:69], v253 offset0:136 offset1:185
	ds_load_2addr_b32 v[66:67], v250 offset0:100 offset1:149
	s_waitcnt lgkmcnt(4)
	v_lshrrev_b32_e32 v2, 16, v0
	s_waitcnt lgkmcnt(0)
	v_lshrrev_b32_e32 v93, 16, v67
	s_waitcnt vmcnt(3)
	v_lshrrev_b32_e32 v11, 16, v243
	s_waitcnt vmcnt(2)
	v_lshrrev_b32_e32 v4, 16, v153
	v_lshrrev_b32_e32 v10, 16, v155
	s_waitcnt vmcnt(0)
	v_lshrrev_b32_e32 v5, 16, v192
	v_lshrrev_b32_e32 v9, 16, v194
	v_mov_b32_e32 v14, v11
	v_mul_f16_e32 v3, v0, v4
	v_lshrrev_b32_e32 v13, 16, v248
	v_mul_f16_e32 v73, v1, v5
	ds_load_2addr_b32 v[70:71], v207 offset0:54 offset1:103
	v_fmac_f16_e64 v3, v2, v153
	v_mul_f16_e32 v2, v2, v4
	v_lshrrev_b32_e32 v4, 16, v1
	s_delay_alu instid0(VALU_DEP_2) | instskip(NEXT) | instid1(VALU_DEP_2)
	v_fma_f16 v2, v0, v153, -v2
	v_mul_f16_e32 v0, v4, v5
	v_fmac_f16_e64 v73, v4, v192
	s_delay_alu instid0(VALU_DEP_2)
	v_fma_f16 v72, v1, v192, -v0
	ds_load_2addr_b32 v[0:1], v222 offset0:92 offset1:141
	s_waitcnt lgkmcnt(0)
	v_lshrrev_b32_e32 v5, 16, v0
	v_lshrrev_b32_e32 v7, 16, v1
	v_mul_f16_e32 v79, v1, v9
	s_delay_alu instid0(VALU_DEP_3) | instskip(NEXT) | instid1(VALU_DEP_3)
	v_mul_f16_e32 v6, v5, v10
	v_mul_f16_e32 v8, v7, v9
	s_delay_alu instid0(VALU_DEP_3) | instskip(NEXT) | instid1(VALU_DEP_3)
	v_fmac_f16_e64 v79, v7, v194
	v_fma_f16 v6, v0, v155, -v6
	s_delay_alu instid0(VALU_DEP_3) | instskip(SKIP_4) | instid1(VALU_DEP_1)
	v_fma_f16 v74, v1, v194, -v8
	v_mul_f16_e32 v8, v0, v10
	ds_load_2addr_b32 v[0:1], v186 offset0:10 offset1:59
	v_fmac_f16_e64 v8, v5, v155
	v_lshrrev_b32_e32 v5, 16, v152
	v_mul_f16_e32 v4, v124, v5
	s_waitcnt lgkmcnt(0)
	v_lshrrev_b32_e32 v9, 16, v0
	v_mul_f16_e32 v115, v1, v13
	s_delay_alu instid0(VALU_DEP_2) | instskip(SKIP_1) | instid1(VALU_DEP_2)
	v_mul_f16_e32 v10, v9, v11
	v_lshrrev_b32_e32 v11, 16, v1
	v_fma_f16 v10, v0, v243, -v10
	s_delay_alu instid0(VALU_DEP_2) | instskip(SKIP_2) | instid1(VALU_DEP_3)
	v_mul_f16_e32 v12, v11, v13
	v_mul_f16_e32 v0, v0, v14
	v_fmac_f16_e64 v115, v11, v248
	v_fma_f16 v80, v1, v248, -v12
	v_lshrrev_b32_e32 v1, 16, v124
	s_delay_alu instid0(VALU_DEP_4) | instskip(SKIP_1) | instid1(VALU_DEP_3)
	v_fmac_f16_e64 v0, v9, v243
	v_lshrrev_b32_e32 v12, 16, v154
	v_fmac_f16_e64 v4, v1, v152
	v_mul_f16_e32 v1, v1, v5
	s_delay_alu instid0(VALU_DEP_2) | instskip(NEXT) | instid1(VALU_DEP_2)
	v_add_f16_e32 v7, v4, v0
	v_fma_f16 v1, v124, v152, -v1
	ds_load_2addr_b32 v[124:125], v195 offset0:130 offset1:179
	v_sub_f16_e32 v0, v4, v0
	v_add_f16_e32 v5, v1, v10
	v_sub_f16_e32 v1, v1, v10
	v_lshrrev_b32_e32 v10, 16, v242
	s_waitcnt lgkmcnt(0)
	v_lshrrev_b32_e32 v4, 16, v125
	s_delay_alu instid0(VALU_DEP_2) | instskip(NEXT) | instid1(VALU_DEP_1)
	v_mul_f16_e32 v9, v125, v10
	v_fmac_f16_e64 v9, v4, v242
	v_mul_f16_e32 v4, v4, v10
	s_delay_alu instid0(VALU_DEP_1)
	v_fma_f16 v4, v125, v242, -v4
	ds_load_2addr_b32 v[125:126], v99 offset0:84 offset1:133
	v_add_f16_e32 v10, v2, v4
	v_sub_f16_e32 v2, v2, v4
	v_add_f16_e32 v4, v3, v9
	v_sub_f16_e32 v3, v3, v9
	s_delay_alu instid0(VALU_DEP_4) | instskip(NEXT) | instid1(VALU_DEP_3)
	v_sub_f16_e32 v13, v10, v5
	v_sub_f16_e32 v14, v4, v7
	s_waitcnt lgkmcnt(0)
	v_lshrrev_b32_e32 v9, 16, v126
	v_mul_f16_e32 v11, v126, v12
	s_delay_alu instid0(VALU_DEP_1) | instskip(SKIP_1) | instid1(VALU_DEP_1)
	v_fmac_f16_e64 v11, v9, v154
	v_mul_f16_e32 v9, v9, v12
	v_fma_f16 v9, v126, v154, -v9
	s_delay_alu instid0(VALU_DEP_1)
	v_add_f16_e32 v12, v9, v6
	v_sub_f16_e32 v6, v6, v9
	v_add_f16_e32 v9, v11, v8
	v_sub_f16_e32 v8, v8, v11
	;; [unrolled: 2-line block ×3, first 2 shown]
	v_sub_f16_e32 v10, v12, v10
	v_sub_f16_e32 v15, v6, v2
	;; [unrolled: 1-line block ×3, first 2 shown]
	v_add_f16_e32 v11, v12, v11
	v_add_f16_e32 v12, v4, v7
	v_sub_f16_e32 v7, v7, v9
	v_sub_f16_e32 v4, v9, v4
	v_mul_f16_e32 v5, 0x3a52, v5
	v_add_f16_e32 v62, v11, v113
	v_add_f16_e32 v9, v9, v12
	;; [unrolled: 1-line block ×3, first 2 shown]
	v_sub_f16_e32 v6, v1, v6
	v_sub_f16_e32 v2, v2, v1
	v_and_b32_e32 v63, 0xffff, v62
	v_fmac_f16_e32 v62, 0xbcab, v11
	v_add_f16_e32 v1, v12, v1
	v_add_f16_e32 v12, v8, v3
	v_sub_f16_e32 v8, v0, v8
	v_sub_f16_e32 v3, v3, v0
	v_mul_f16_e32 v7, 0x3a52, v7
	v_mul_f16_e32 v11, 0x2b26, v4
	v_add_f16_e32 v0, v12, v0
	v_lshrrev_b32_e32 v12, 16, v113
	v_lshrrev_b32_e32 v113, 16, v114
	v_fmamk_f16 v4, v4, 0x2b26, v7
	v_fma_f16 v11, v14, 0x39e0, -v11
	v_fma_f16 v7, v14, 0xb9e0, -v7
	v_add_f16_e32 v12, v9, v12
	v_mul_f16_e32 v14, 0xbb00, v2
	s_delay_alu instid0(VALU_DEP_2)
	v_lshlrev_b32_e32 v60, 16, v12
	v_fmac_f16_e32 v12, 0xbcab, v9
	v_mul_f16_e32 v9, 0x2b26, v10
	v_fmamk_f16 v10, v10, 0x2b26, v5
	v_fma_f16 v5, v13, 0xb9e0, -v5
	v_fmac_f16_e32 v14, 0xb574, v6
	v_or_b32_e32 v60, v60, v63
	v_fma_f16 v9, v13, 0x39e0, -v9
	v_mul_f16_e32 v13, 0xb846, v15
	v_mul_f16_e32 v15, 0xbb00, v3
	v_add_f16_e32 v5, v5, v62
	v_fmac_f16_e32 v14, 0x370e, v1
	v_add_f16_e32 v9, v9, v62
	v_fma_f16 v2, v2, 0x3b00, -v13
	v_fmamk_f16 v13, v6, 0x3574, v13
	v_mul_f16_e32 v6, 0xb846, v61
	v_fmac_f16_e32 v15, 0xb574, v8
	v_add_f16_e32 v4, v4, v12
	v_fmac_f16_e32 v2, 0x370e, v1
	v_fmac_f16_e32 v13, 0x370e, v1
	v_fma_f16 v3, v3, 0x3b00, -v6
	v_fmamk_f16 v6, v8, 0x3574, v6
	v_add_f16_e32 v8, v10, v62
	v_add_f16_e32 v10, v11, v12
	v_fmac_f16_e32 v15, 0x370e, v0
	v_fmac_f16_e32 v3, 0x370e, v0
	v_fmac_f16_e32 v6, 0x370e, v0
	v_lshrrev_b32_e32 v0, 16, v68
	v_add_f16_e32 v75, v2, v10
	v_sub_f16_e32 v62, v10, v2
	v_sub_f16_e32 v1, v9, v3
	v_add_f16_e32 v61, v3, v9
	v_lshrrev_b32_e32 v3, 16, v191
	v_add_f16_e32 v88, v15, v5
	v_sub_f16_e32 v63, v5, v15
	v_lshrrev_b32_e32 v5, 16, v247
	v_add_f16_e32 v90, v6, v8
	v_mul_f16_e32 v2, v68, v3
	v_sub_f16_e32 v77, v8, v6
	v_sub_f16_e32 v91, v4, v13
	v_add_f16_e32 v78, v13, v4
	v_lshrrev_b32_e32 v4, 16, v66
	v_fmac_f16_e64 v2, v0, v191
	v_mul_f16_e32 v0, v0, v3
	v_mul_f16_e32 v3, v66, v5
	v_lshrrev_b32_e32 v6, 16, v193
	v_add_f16_e32 v7, v7, v12
	v_pack_b32_f16 v1, v1, v75
	v_fma_f16 v11, v68, v191, -v0
	v_fmac_f16_e64 v3, v4, v247
	v_mul_f16_e32 v4, v4, v5
	v_lshrrev_b32_e32 v5, 16, v70
	v_mul_f16_e32 v8, v70, v6
	v_add_f16_e32 v68, v11, v80
	v_sub_f16_e32 v89, v7, v14
	v_fma_f16 v10, v66, v247, -v4
	v_add_f16_e32 v76, v14, v7
	v_fmac_f16_e64 v8, v5, v193
	v_mul_f16_e32 v5, v5, v6
	v_add_f16_e32 v6, v73, v3
	v_sub_f16_e32 v3, v73, v3
	s_delay_alu instid0(VALU_DEP_4) | instskip(NEXT) | instid1(VALU_DEP_4)
	v_add_f16_e32 v7, v8, v79
	v_fma_f16 v9, v70, v193, -v5
	v_add_f16_e32 v70, v72, v10
	v_add_f16_e32 v5, v2, v115
	v_sub_f16_e32 v10, v72, v10
	v_sub_f16_e32 v8, v79, v8
	v_add_f16_e32 v0, v9, v74
	v_add_f16_e32 v4, v70, v68
	;; [unrolled: 1-line block ×3, first 2 shown]
	v_sub_f16_e32 v9, v74, v9
	v_sub_f16_e32 v2, v2, v115
	;; [unrolled: 1-line block ×3, first 2 shown]
	v_add_f16_e32 v87, v0, v4
	v_add_f16_e32 v12, v7, v12
	v_pack_b32_f16 v4, v90, v91
	v_sub_f16_e64 v142, v8, v3
	v_sub_f16_e32 v7, v7, v6
	v_add_f16_e32 v66, v87, v114
	v_add_f16_e32 v13, v12, v113
	ds_store_b32 v251, v4 offset:1372
	v_pack_b32_f16 v4, v88, v89
	v_mul_f16_e32 v115, 0x3a52, v115
	v_and_b32_e32 v15, 0xffff, v66
	v_lshlrev_b32_e32 v14, 16, v13
	v_fmac_f16_e32 v13, 0xbcab, v12
	v_fmac_f16_e32 v66, 0xbcab, v87
	v_mul_f16_e64 v142, 0xb846, v142
	v_fma_f16 v144, 0x2b26, v7, v115
	v_or_b32_e32 v14, v14, v15
	v_pack_b32_f16 v15, v61, v62
	v_pack_b32_f16 v61, v63, v76
	;; [unrolled: 1-line block ×3, first 2 shown]
	ds_store_b32 v251, v4 offset:2744
	ds_store_b32 v251, v1 offset:4116
	;; [unrolled: 1-line block ×5, first 2 shown]
	ds_load_b32 v1, v251 offset:9408
	ds_load_2addr_b32 v[88:89], v251 offset0:98 offset1:147
	ds_load_2addr_b32 v[90:91], v196 offset0:16 offset1:65
	ds_load_2addr_b32 v[116:117], v222 offset0:190 offset1:239
	ds_load_2addr_b32 v[118:119], v186 offset0:108 offset1:157
	ds_load_2addr_b32 v[136:137], v238 offset0:106 offset1:155
	ds_load_2addr_b32 v[138:139], v207 offset0:152 offset1:201
	ds_load_2addr_b32 v[140:141], v176 offset0:70 offset1:119
	ds_load_2addr_b32 v[75:76], v251 offset0:196 offset1:245
	ds_load_2addr_b32 v[132:133], v196 offset0:114 offset1:163
	ds_load_2addr_b32 v[120:121], v195 offset0:32 offset1:81
	ds_load_2addr_b32 v[77:78], v186 offset0:206 offset1:255
	ds_load_2addr_b32 v[130:131], v181 offset0:76 offset1:125
	ds_load_2addr_b32 v[128:129], v98 offset0:122 offset1:171
	ds_load_2addr_b32 v[126:127], v176 offset0:168 offset1:217
	ds_store_2addr_b32 v251, v60, v14 offset1:49
	s_clause 0x1
	global_load_b64 v[113:114], v[64:65], off offset:2536
	global_load_b128 v[60:63], v[64:65], off offset:2520
	v_lshrrev_b32_e32 v4, 16, v69
	v_add_f16_e64 v144, v144, v13
	v_sub_f16_e32 v5, v6, v5
	v_mul_f16_e32 v7, 0x2b26, v7
	s_waitcnt vmcnt(0)
	v_lshrrev_b32_e32 v15, 16, v60
	v_lshrrev_b32_e32 v16, 16, v62
	s_delay_alu instid0(VALU_DEP_2) | instskip(SKIP_1) | instid1(VALU_DEP_2)
	v_mul_f16_e32 v14, v4, v15
	v_mul_f16_e32 v15, v69, v15
	v_fma_f16 v14, v69, v60, -v14
	v_lshrrev_b32_e32 v69, 16, v71
	s_delay_alu instid0(VALU_DEP_3) | instskip(SKIP_4) | instid1(VALU_DEP_1)
	v_fmac_f16_e32 v15, v4, v60
	v_sub_f16_e32 v4, v11, v80
	s_waitcnt lgkmcnt(11)
	v_lshrrev_b32_e32 v11, 16, v118
	v_mul_f16_e32 v92, v69, v16
	v_fma_f16 v92, v71, v62, -v92
	v_mul_f16_e32 v71, v71, v16
	v_lshrrev_b32_e32 v16, 16, v113
	s_delay_alu instid0(VALU_DEP_2) | instskip(NEXT) | instid1(VALU_DEP_2)
	v_fmac_f16_e32 v71, v69, v62
	v_mul_f16_e32 v122, v93, v16
	s_delay_alu instid0(VALU_DEP_1) | instskip(SKIP_2) | instid1(VALU_DEP_2)
	v_fma_f16 v122, v67, v113, -v122
	v_mul_f16_e32 v67, v67, v16
	v_lshrrev_b32_e32 v16, 16, v114
	v_fmac_f16_e32 v67, v93, v113
	s_delay_alu instid0(VALU_DEP_2) | instskip(NEXT) | instid1(VALU_DEP_1)
	v_mul_f16_e32 v12, v118, v16
	v_fmac_f16_e32 v12, v11, v114
	v_mul_f16_e32 v11, v11, v16
	v_lshrrev_b32_e32 v16, 16, v61
	s_delay_alu instid0(VALU_DEP_2) | instskip(NEXT) | instid1(VALU_DEP_2)
	v_fma_f16 v11, v118, v114, -v11
	v_mul_f16_e32 v72, v90, v16
	v_sub_f16_e32 v118, v9, v10
	s_delay_alu instid0(VALU_DEP_3)
	v_add_f16_e32 v69, v14, v11
	v_sub_f16_e32 v11, v14, v11
	v_add_f16_e32 v14, v15, v12
	v_sub_f16_e32 v12, v15, v12
	v_lshrrev_b32_e32 v15, 16, v90
	v_mul_f16_e32 v118, 0xb846, v118
	s_delay_alu instid0(VALU_DEP_2) | instskip(SKIP_2) | instid1(VALU_DEP_3)
	v_fmac_f16_e32 v72, v15, v61
	v_mul_f16_e32 v15, v15, v16
	v_lshrrev_b32_e32 v16, 16, v63
	v_add_f16_e32 v74, v72, v67
	v_sub_f16_e32 v67, v72, v67
	v_lshrrev_b32_e32 v72, 16, v116
	s_delay_alu instid0(VALU_DEP_4) | instskip(SKIP_1) | instid1(VALU_DEP_2)
	v_mul_f16_e32 v79, v116, v16
	v_fma_f16 v15, v90, v61, -v15
	v_fmac_f16_e32 v79, v72, v63
	v_mul_f16_e32 v72, v72, v16
	s_delay_alu instid0(VALU_DEP_3)
	v_add_f16_e32 v73, v15, v122
	v_sub_f16_e32 v15, v15, v122
	v_add_f16_e32 v122, v8, v3
	v_add_f16_e32 v87, v71, v79
	v_fma_f16 v72, v116, v63, -v72
	v_sub_f16_e32 v71, v79, v71
	v_add_f16_e32 v79, v73, v69
	v_add_f16_e32 v116, v9, v10
	v_sub_f16_e32 v9, v4, v9
	v_add_f16_e32 v80, v92, v72
	v_sub_f16_e32 v72, v72, v92
	v_sub_f16_e32 v8, v2, v8
	v_add_f16_e32 v116, v116, v4
	v_sub_f16_e32 v4, v10, v4
	v_add_f16_e32 v79, v80, v79
	v_add_f16_e32 v122, v122, v2
	v_fma_f16 v145, 0x3574, v8, v142
	v_fma_f16 v146, 0x3574, v9, v118
	v_sub_f16_e32 v2, v3, v2
	v_add_f16_e32 v90, v79, v88
	v_lshrrev_b32_e32 v88, 16, v88
	v_mul_f16_e32 v3, 0xbb00, v4
	v_fmac_f16_e64 v145, 0x370e, v122
	v_fmac_f16_e64 v146, 0x370e, v116
	v_and_b32_e32 v92, 0xffff, v90
	v_fmac_f16_e32 v90, 0xbcab, v79
	v_add_f16_e32 v79, v74, v14
	v_add_f16_e64 v158, v71, v67
	v_sub_f16_e32 v10, v70, v68
	v_fmac_f16_e32 v3, 0xb574, v9
	v_mul_f16_e32 v9, 0xbb00, v2
	v_add_f16_e32 v79, v87, v79
	v_sub_f16_e64 v148, v144, v146
	v_sub_f16_e64 v159, v71, v67
	v_sub_f16_e32 v71, v12, v71
	v_add_f16_e64 v158, v158, v12
	v_add_f16_e32 v88, v79, v88
	v_fmac_f16_e32 v9, 0xb574, v8
	v_sub_f16_e32 v12, v67, v12
	v_fmac_f16_e32 v3, 0x370e, v116
	v_sub_f16_e64 v149, v14, v87
	v_lshlrev_b32_e32 v93, 16, v88
	v_fmac_f16_e32 v88, 0xbcab, v79
	v_sub_f16_e32 v79, v68, v0
	v_sub_f16_e32 v0, v0, v70
	v_fma_f16 v68, v5, 0xb9e0, -v115
	v_fmac_f16_e32 v9, 0x370e, v122
	v_sub_f16_e32 v87, v87, v74
	v_mul_f16_e32 v79, 0x3a52, v79
	v_add_f16_e64 v150, v72, v15
	v_add_f16_e32 v68, v68, v13
	v_sub_f16_e64 v151, v72, v15
	v_sub_f16_e32 v8, v73, v69
	v_fma_f16 v143, 0x2b26, v0, v79
	v_fma_f16 v67, v10, 0xb9e0, -v79
	v_sub_f16_e32 v70, v68, v3
	v_fma_f16 v5, v5, 0x39e0, -v7
	v_sub_f16_e32 v72, v11, v72
	v_add_f16_e64 v143, v143, v66
	v_add_f16_e32 v67, v67, v66
	v_add_f16_e64 v150, v150, v11
	v_mul_f16_e64 v151, 0xb846, v151
	v_mul_f16_e64 v159, 0xb846, v159
	v_add_f16_e64 v147, v145, v143
	v_sub_f16_e32 v6, v15, v11
	v_sub_f16_e32 v11, v74, v14
	v_mul_f16_e32 v0, 0x2b26, v0
	v_fma_f16 v4, v4, 0x3b00, -v118
	v_pack_b32_f16 v147, v147, v148
	v_sub_f16_e64 v148, v69, v80
	v_sub_f16_e32 v80, v80, v73
	v_add_f16_e32 v69, v9, v67
	v_mul_f16_e32 v14, 0xbb00, v6
	v_fma_f16 v0, v10, 0x39e0, -v0
	v_mul_f16_e64 v148, 0x3a52, v148
	v_mul_f16_e32 v7, 0x2b26, v80
	v_pack_b32_f16 v69, v69, v70
	v_fma_f16 v2, v2, 0x3b00, -v142
	v_fma_f16 v6, v6, 0x3b00, -v151
	;; [unrolled: 1-line block ×4, first 2 shown]
	v_mul_f16_e32 v8, 0x2b26, v87
	v_fma_f16 v10, v12, 0x3b00, -v159
	v_mul_f16_e64 v149, 0x3a52, v149
	v_mul_f16_e32 v15, 0xbb00, v12
	v_add_f16_e32 v0, v0, v66
	v_fma_f16 v8, v11, 0x39e0, -v8
	v_add_f16_e32 v5, v5, v13
	v_fmac_f16_e32 v4, 0x370e, v116
	v_fmac_f16_e32 v2, 0x370e, v122
	v_add_f16_e32 v7, v7, v90
	v_add_f16_e32 v8, v8, v88
	v_fmac_f16_e64 v6, 0x370e, v150
	v_fmac_f16_e64 v10, 0x370e, v158
	v_fma_f16 v165, 0x3574, v71, v159
	v_fmac_f16_e32 v14, 0xb574, v72
	v_fmac_f16_e32 v15, 0xb574, v71
	v_fma_f16 v71, v11, 0xb9e0, -v149
	v_sub_f16_e32 v11, v0, v2
	v_add_f16_e32 v12, v4, v5
	v_add_f16_e32 v0, v2, v0
	v_sub_f16_e32 v2, v5, v4
	v_add_f16_e32 v4, v10, v7
	v_sub_f16_e32 v5, v8, v6
	v_add_f16_e32 v70, v70, v90
	v_add_f16_e32 v71, v71, v88
	v_fmac_f16_e64 v15, 0x370e, v158
	v_fmac_f16_e64 v14, 0x370e, v150
	v_pack_b32_f16 v0, v0, v2
	v_pack_b32_f16 v2, v4, v5
	v_fma_f16 v160, 0x2b26, v80, v148
	v_fma_f16 v163, 0x2b26, v87, v149
	;; [unrolled: 1-line block ×3, first 2 shown]
	v_add_f16_e32 v4, v14, v71
	ds_store_2addr_b32 v222, v0, v2 offset0:141 offset1:190
	v_sub_f16_e32 v0, v67, v9
	v_add_f16_e32 v2, v3, v68
	v_sub_f16_e32 v3, v70, v15
	v_add_f16_e64 v160, v160, v90
	v_add_f16_e64 v163, v163, v88
	v_fmac_f16_e64 v165, 0x370e, v158
	v_fmac_f16_e64 v166, 0x370e, v150
	v_pack_b32_f16 v0, v0, v2
	v_pack_b32_f16 v2, v3, v4
	v_add_f16_e32 v72, v15, v70
	v_sub_f16_e64 v3, v160, v165
	v_add_f16_e64 v4, v166, v163
	v_add_f16_e64 v167, v165, v160
	ds_store_2addr_b32 v250, v0, v2 offset0:100 offset1:149
	v_sub_f16_e64 v0, v143, v145
	v_add_f16_e64 v2, v146, v144
	v_sub_f16_e64 v172, v163, v166
	v_sub_f16_e32 v73, v71, v14
	v_pack_b32_f16 v11, v11, v12
	v_sub_f16_e32 v12, v7, v10
	v_pack_b32_f16 v0, v0, v2
	v_pack_b32_f16 v2, v3, v4
	v_add_f16_e32 v13, v6, v8
	v_pack_b32_f16 v167, v167, v172
	v_pack_b32_f16 v72, v72, v73
	v_lshrrev_b32_e32 v6, 16, v117
	ds_store_2addr_b32 v186, v0, v2 offset0:59 offset1:108
	v_add_co_u32 v2, vcc_lo, 0x498, v64
	v_pack_b32_f16 v12, v12, v13
	v_add_co_ci_u32_e32 v3, vcc_lo, 0, v65, vcc_lo
	v_add_co_u32 v8, vcc_lo, 0x930, v64
	v_add_co_ci_u32_e32 v9, vcc_lo, 0, v65, vcc_lo
	v_add_co_u32 v10, vcc_lo, 0xdc8, v64
	ds_store_2addr_b32 v253, v147, v167 offset0:136 offset1:185
	ds_store_2addr_b32 v100, v69, v72 offset0:95 offset1:144
	;; [unrolled: 1-line block ×3, first 2 shown]
	v_add_co_ci_u32_e32 v11, vcc_lo, 0, v65, vcc_lo
	s_clause 0x1
	global_load_b64 v[115:116], v[64:65], off offset:3712
	global_load_b128 v[64:67], v[64:65], off offset:3696
	v_lshrrev_b32_e32 v13, 16, v119
	v_lshrrev_b32_e32 v0, 16, v91
	s_waitcnt lgkmcnt(14)
	v_lshrrev_b32_e32 v68, 16, v140
	v_lshrrev_b32_e32 v69, 16, v138
	s_waitcnt vmcnt(1)
	v_lshrrev_b32_e32 v15, 16, v116
	s_waitcnt vmcnt(0)
	v_lshrrev_b32_e32 v223, 16, v67
	v_lshrrev_b32_e32 v220, 16, v64
	v_lshrrev_b32_e32 v16, 16, v115
	v_lshrrev_b32_e32 v221, 16, v65
	v_mul_f16_e32 v14, v13, v15
	v_mul_f16_e64 v12, v117, v223
	v_mul_f16_e32 v15, v119, v15
	v_mul_f16_e64 v7, v6, v223
	v_mul_f16_e64 v72, v140, v16
	v_lshrrev_b32_e32 v218, 16, v66
	v_fmac_f16_e32 v12, v6, v67
	v_fmac_f16_e32 v15, v13, v116
	v_lshrrev_b32_e32 v6, 16, v136
	v_mul_f16_e64 v13, v136, v220
	v_mul_f16_e64 v4, v0, v221
	;; [unrolled: 1-line block ×3, first 2 shown]
	v_fmac_f16_e32 v72, v68, v115
	v_mul_f16_e32 v68, v68, v16
	v_fmac_f16_e32 v13, v6, v64
	v_mul_f16_e64 v6, v6, v220
	v_mul_f16_e64 v73, v138, v218
	v_fma_f16 v4, v91, v65, -v4
	v_fma_f16 v14, v119, v116, -v14
	v_fmac_f16_e32 v5, v0, v65
	v_fma_f16 v6, v136, v64, -v6
	v_fmac_f16_e32 v73, v69, v66
	v_mul_f16_e64 v69, v69, v218
	v_fma_f16 v74, v140, v115, -v68
	v_fma_f16 v7, v117, v67, -v7
	v_or_b32_e32 v0, v93, v92
	v_add_f16_e32 v80, v6, v14
	v_fma_f16 v79, v138, v66, -v69
	v_add_f16_e32 v87, v4, v74
	v_add_f16_e32 v91, v13, v15
	;; [unrolled: 1-line block ×6, first 2 shown]
	v_lshrrev_b32_e32 v136, 16, v139
	v_add_f16_e32 v69, v92, v91
	v_sub_f16_e32 v5, v5, v72
	v_sub_f16_e32 v7, v7, v79
	v_add_f16_e32 v90, v88, v68
	v_lshrrev_b32_e32 v68, 16, v89
	v_add_f16_e32 v119, v93, v69
	v_sub_f16_e32 v12, v12, v73
	v_sub_f16_e32 v4, v4, v74
	v_add_f16_e32 v89, v90, v89
	s_delay_alu instid0(VALU_DEP_4) | instskip(NEXT) | instid1(VALU_DEP_4)
	v_add_f16_e32 v122, v119, v68
	v_sub_f16_e64 v142, v12, v5
	s_delay_alu instid0(VALU_DEP_3) | instskip(SKIP_1) | instid1(VALU_DEP_4)
	v_and_b32_e32 v69, 0xffff, v89
	v_fmac_f16_e32 v89, 0xbcab, v90
	v_lshlrev_b32_e32 v68, 16, v122
	v_fmac_f16_e32 v122, 0xbcab, v119
	v_mul_f16_e64 v142, 0xb846, v142
	s_delay_alu instid0(VALU_DEP_3)
	v_or_b32_e32 v68, v68, v69
	ds_store_2addr_b32 v251, v0, v68 offset0:98 offset1:147
	s_clause 0x1
	global_load_b64 v[117:118], v[2:3], off offset:3712
	global_load_b128 v[68:71], v[2:3], off offset:3696
	v_lshrrev_b32_e32 v0, 16, v137
	s_waitcnt vmcnt(1)
	v_lshrrev_b32_e32 v16, 16, v117
	s_waitcnt vmcnt(0)
	v_lshrrev_b32_e32 v211, 16, v68
	v_lshrrev_b32_e32 v217, 16, v70
	;; [unrolled: 1-line block ×4, first 2 shown]
	s_delay_alu instid0(VALU_DEP_4)
	v_mul_f16_e64 v3, v137, v211
	v_mul_f16_e64 v2, v0, v211
	;; [unrolled: 1-line block ×3, first 2 shown]
	s_waitcnt lgkmcnt(13)
	v_mul_f16_e64 v72, v132, v209
	s_waitcnt lgkmcnt(12)
	v_mul_f16_e64 v79, v120, v208
	v_fmac_f16_e32 v3, v0, v68
	v_sub_f16_e32 v0, v6, v14
	v_sub_f16_e32 v6, v13, v15
	v_lshrrev_b32_e32 v15, 16, v118
	s_waitcnt lgkmcnt(11)
	v_lshrrev_b32_e32 v13, 16, v77
	v_fma_f16 v2, v137, v68, -v2
	v_mul_f16_e64 v137, v136, v217
	v_fmac_f16_e64 v138, v136, v70
	v_mul_f16_e32 v14, v77, v15
	s_delay_alu instid0(VALU_DEP_3) | instskip(SKIP_1) | instid1(VALU_DEP_3)
	v_fma_f16 v137, v139, v70, -v137
	v_lshrrev_b32_e32 v139, 16, v141
	v_fmac_f16_e32 v14, v13, v118
	v_mul_f16_e32 v13, v13, v15
	s_delay_alu instid0(VALU_DEP_3) | instskip(NEXT) | instid1(VALU_DEP_2)
	v_mul_f16_e64 v140, v139, v16
	v_fma_f16 v13, v77, v118, -v13
	v_lshrrev_b32_e32 v77, 16, v120
	s_delay_alu instid0(VALU_DEP_3) | instskip(SKIP_1) | instid1(VALU_DEP_4)
	v_fma_f16 v140, v141, v117, -v140
	v_mul_f16_e64 v141, v141, v16
	v_add_f16_e32 v15, v2, v13
	v_sub_f16_e32 v2, v2, v13
	v_add_f16_e32 v13, v3, v14
	v_sub_f16_e32 v3, v3, v14
	v_lshrrev_b32_e32 v14, 16, v132
	v_fmac_f16_e32 v79, v77, v71
	v_mul_f16_e64 v77, v77, v208
	v_fmac_f16_e64 v141, v139, v117
	v_add_f16_e64 v139, v7, v4
	v_fmac_f16_e32 v72, v14, v69
	v_mul_f16_e64 v14, v14, v209
	v_fma_f16 v77, v120, v71, -v77
	v_add_f16_e64 v119, v138, v79
	v_sub_f16_e64 v79, v79, v138
	v_add_f16_e64 v74, v72, v141
	v_fma_f16 v14, v132, v69, -v14
	v_add_f16_e64 v90, v137, v77
	v_sub_f16_e64 v77, v77, v137
	v_sub_f16_e64 v138, v91, v93
	v_sub_f16_e64 v72, v72, v141
	v_add_f16_e64 v73, v14, v140
	v_sub_f16_e64 v14, v14, v140
	v_sub_f16_e64 v140, v7, v4
	v_sub_f16_e32 v93, v93, v92
	v_sub_f16_e32 v7, v0, v7
	v_add_f16_e32 v120, v73, v15
	v_add_f16_e64 v141, v12, v5
	v_sub_f16_e32 v12, v6, v12
	v_mul_f16_e64 v138, 0x3a52, v138
	v_mul_f16_e64 v140, 0xb846, v140
	v_add_f16_e32 v120, v90, v120
	v_add_f16_e64 v139, v139, v0
	v_add_f16_e64 v141, v141, v6
	v_fma_f16 v144, 0x2b26, v93, v138
	v_fma_f16 v145, 0x3574, v12, v142
	v_add_f16_e64 v132, v120, v75
	v_lshrrev_b32_e32 v75, 16, v75
	v_fma_f16 v146, 0x3574, v7, v140
	v_sub_f16_e32 v0, v4, v0
	v_add_f16_e64 v144, v144, v122
	v_and_b32_e32 v136, 0xffff, v132
	v_fmac_f16_e64 v132, 0xbcab, v120
	v_add_f16_e32 v120, v74, v13
	v_fmac_f16_e64 v145, 0x370e, v141
	v_fmac_f16_e64 v146, 0x370e, v139
	v_sub_f16_e32 v5, v5, v6
	v_mul_f16_e32 v6, 0xbb00, v0
	v_add_f16_e32 v120, v119, v120
	v_add_f16_e64 v150, v77, v14
	v_sub_f16_e64 v148, v144, v146
	v_add_f16_e64 v158, v79, v72
	v_sub_f16_e32 v4, v87, v80
	v_add_f16_e32 v75, v120, v75
	v_fmac_f16_e32 v6, 0xb574, v7
	v_mul_f16_e32 v7, 0xbb00, v5
	v_sub_f16_e64 v151, v77, v14
	v_sub_f16_e32 v77, v2, v77
	v_lshlrev_b32_e32 v137, 16, v75
	v_fmac_f16_e32 v75, 0xbcab, v120
	v_sub_f16_e32 v120, v80, v88
	v_sub_f16_e32 v88, v88, v87
	;; [unrolled: 1-line block ×3, first 2 shown]
	v_sub_f16_e64 v159, v79, v72
	v_sub_f16_e32 v79, v3, v79
	v_mul_f16_e32 v120, 0x3a52, v120
	v_add_f16_e64 v150, v150, v2
	v_add_f16_e64 v158, v158, v3
	v_sub_f16_e32 v2, v14, v2
	v_fmac_f16_e32 v7, 0xb574, v12
	v_fma_f16 v143, 0x2b26, v88, v120
	v_sub_f16_e32 v12, v73, v15
	v_sub_f16_e32 v3, v72, v3
	v_fma_f16 v72, v4, 0xb9e0, -v120
	v_sub_f16_e64 v149, v13, v119
	v_add_f16_e64 v143, v143, v89
	v_mul_f16_e64 v151, 0xb846, v151
	v_mul_f16_e32 v14, 0xbb00, v2
	v_add_f16_e32 v72, v72, v89
	v_fmac_f16_e64 v7, 0x370e, v141
	v_add_f16_e64 v147, v145, v143
	v_fmac_f16_e64 v6, 0x370e, v139
	v_sub_f16_e32 v119, v119, v74
	v_mul_f16_e64 v149, 0x3a52, v149
	v_mul_f16_e64 v159, 0xb846, v159
	v_pack_b32_f16 v147, v147, v148
	v_sub_f16_e64 v148, v15, v90
	v_sub_f16_e32 v90, v90, v73
	v_fma_f16 v73, v80, 0xb9e0, -v138
	v_fma_f16 v166, 0x3574, v77, v151
	v_sub_f16_e32 v13, v74, v13
	v_mul_f16_e64 v148, 0x3a52, v148
	v_fmac_f16_e32 v14, 0xb574, v77
	v_add_f16_e32 v73, v73, v122
	v_mul_f16_e32 v15, 0xbb00, v3
	v_add_f16_e32 v74, v7, v72
	v_fma_f16 v165, 0x3574, v79, v159
	v_fmac_f16_e64 v14, 0x370e, v150
	v_sub_f16_e32 v77, v73, v6
	v_fmac_f16_e32 v15, 0xb574, v79
	v_fma_f16 v79, v13, 0xb9e0, -v149
	v_fma_f16 v0, v0, 0x3b00, -v140
	;; [unrolled: 1-line block ×3, first 2 shown]
	v_pack_b32_f16 v74, v74, v77
	v_fma_f16 v77, v12, 0xb9e0, -v148
	v_add_f16_e32 v79, v79, v75
	v_fmac_f16_e64 v15, 0x370e, v158
	v_fma_f16 v163, 0x2b26, v119, v149
	v_fmac_f16_e64 v0, 0x370e, v139
	v_add_f16_e64 v77, v77, v132
	v_sub_f16_e32 v91, v79, v14
	v_fma_f16 v2, v2, 0x3b00, -v151
	v_fma_f16 v3, v3, 0x3b00, -v159
	v_fmac_f16_e64 v5, 0x370e, v141
	v_add_f16_e32 v87, v15, v77
	v_add_f16_e64 v163, v163, v75
	v_fmac_f16_e64 v2, 0x370e, v150
	v_fmac_f16_e64 v3, 0x370e, v158
	v_fma_f16 v160, 0x2b26, v90, v148
	v_pack_b32_f16 v87, v87, v91
	v_fmac_f16_e64 v165, 0x370e, v158
	v_fmac_f16_e64 v166, 0x370e, v150
	v_mov_b32_e32 v159, v99
	v_add_f16_e64 v160, v160, v132
	ds_store_2addr_b32 v196, v74, v87 offset0:65 offset1:114
	v_mul_f16_e32 v74, 0x2b26, v88
	v_sub_f16_e64 v172, v163, v166
	s_waitcnt lgkmcnt(9)
	v_lshrrev_b32_e32 v139, 16, v127
	v_add_f16_e64 v167, v165, v160
	v_mov_b32_e32 v158, v98
	v_fma_f16 v4, v4, 0x39e0, -v74
	v_mul_f16_e32 v74, 0x2b26, v93
	s_delay_alu instid0(VALU_DEP_4) | instskip(NEXT) | instid1(VALU_DEP_3)
	v_pack_b32_f16 v167, v167, v172
	v_add_f16_e32 v4, v4, v89
	s_delay_alu instid0(VALU_DEP_3)
	v_fma_f16 v74, v80, 0x39e0, -v74
	v_mul_f16_e32 v80, 0x2b26, v90
	ds_store_2addr_b32 v238, v147, v167 offset0:106 offset1:155
	v_add_f16_e32 v74, v74, v122
	v_fma_f16 v12, v12, 0x39e0, -v80
	v_mul_f16_e32 v80, 0x2b26, v119
	s_delay_alu instid0(VALU_DEP_2) | instskip(NEXT) | instid1(VALU_DEP_2)
	v_add_f16_e64 v12, v12, v132
	v_fma_f16 v13, v13, 0x39e0, -v80
	v_add_f16_e32 v80, v0, v74
	v_sub_f16_e32 v0, v74, v0
	s_delay_alu instid0(VALU_DEP_3) | instskip(SKIP_2) | instid1(VALU_DEP_3)
	v_add_f16_e32 v13, v13, v75
	v_sub_f16_e32 v75, v4, v5
	v_add_f16_e32 v4, v5, v4
	v_add_f16_e32 v87, v2, v13
	s_delay_alu instid0(VALU_DEP_3)
	v_pack_b32_f16 v75, v75, v80
	v_sub_f16_e32 v80, v12, v3
	v_add_f16_e32 v3, v3, v12
	v_sub_f16_e32 v2, v13, v2
	v_pack_b32_f16 v0, v4, v0
	v_add_f16_e32 v4, v14, v79
	v_pack_b32_f16 v80, v80, v87
	v_lshrrev_b32_e32 v12, 16, v126
	v_pack_b32_f16 v2, v3, v2
	v_sub_f16_e32 v3, v77, v15
	v_lshrrev_b32_e32 v14, 16, v128
	ds_store_2addr_b32 v207, v75, v80 offset0:152 offset1:201
	ds_store_2addr_b32 v101, v0, v2 offset0:111 offset1:160
	v_sub_f16_e32 v0, v72, v7
	v_add_f16_e32 v2, v6, v73
	v_lshrrev_b32_e32 v7, 16, v78
	s_delay_alu instid0(VALU_DEP_2)
	v_pack_b32_f16 v0, v0, v2
	v_pack_b32_f16 v2, v3, v4
	v_sub_f16_e64 v3, v160, v165
	v_add_f16_e64 v4, v166, v163
	ds_store_2addr_b32 v176, v0, v2 offset0:70 offset1:119
	v_sub_f16_e64 v0, v143, v145
	v_add_f16_e64 v2, v146, v144
	s_delay_alu instid0(VALU_DEP_1)
	v_pack_b32_f16 v0, v0, v2
	v_pack_b32_f16 v2, v3, v4
	v_lshrrev_b32_e32 v4, 16, v121
	ds_store_2addr_b32 v186, v0, v2 offset0:157 offset1:206
	s_clause 0x1
	global_load_b64 v[119:120], v[8:9], off offset:3712
	global_load_b128 v[72:75], v[8:9], off offset:3696
	v_lshrrev_b32_e32 v0, 16, v133
	s_waitcnt vmcnt(1)
	v_lshrrev_b32_e32 v206, 16, v120
	s_waitcnt vmcnt(0)
	v_lshrrev_b32_e32 v172, 16, v75
	v_lshrrev_b32_e32 v166, 16, v72
	;; [unrolled: 1-line block ×4, first 2 shown]
	v_mul_f16_e64 v9, v78, v206
	v_mul_f16_e64 v6, v121, v172
	;; [unrolled: 1-line block ×5, first 2 shown]
	v_fmac_f16_e32 v9, v7, v120
	v_fmac_f16_e32 v6, v4, v75
	v_lshrrev_b32_e32 v4, 16, v130
	v_mul_f16_e64 v7, v130, v166
	v_lshrrev_b32_e32 v165, 16, v74
	v_mul_f16_e64 v2, v0, v167
	v_fmac_f16_e32 v13, v12, v119
	v_mul_f16_e64 v12, v12, v200
	v_fmac_f16_e32 v7, v4, v72
	v_mul_f16_e64 v4, v4, v166
	v_mul_f16_e64 v15, v128, v165
	v_fma_f16 v2, v133, v73, -v2
	v_fma_f16 v8, v78, v120, -v8
	;; [unrolled: 1-line block ×4, first 2 shown]
	v_fmac_f16_e32 v15, v14, v74
	v_mul_f16_e64 v14, v14, v165
	v_mul_f16_e64 v3, v133, v167
	v_fma_f16 v5, v121, v75, -v5
	v_add_f16_e32 v87, v4, v8
	v_add_f16_e32 v88, v2, v12
	v_fma_f16 v80, v128, v74, -v14
	v_fmac_f16_e32 v3, v0, v73
	v_add_f16_e32 v92, v7, v9
	v_add_f16_e32 v126, v15, v6
	;; [unrolled: 1-line block ×5, first 2 shown]
	v_or_b32_e32 v0, v137, v136
	v_lshrrev_b32_e32 v133, 16, v129
	v_lshrrev_b32_e32 v137, 16, v124
	v_add_f16_e32 v90, v89, v14
	v_lshrrev_b32_e32 v14, 16, v76
	v_sub_f16_e32 v2, v2, v12
	v_sub_f16_e32 v3, v3, v13
	;; [unrolled: 1-line block ×3, first 2 shown]
	v_add_f16_e32 v91, v90, v76
	v_add_f16_e32 v76, v93, v92
	v_sub_f16_e32 v5, v5, v80
	s_delay_alu instid0(VALU_DEP_2) | instskip(NEXT) | instid1(VALU_DEP_4)
	v_add_f16_e64 v128, v126, v76
	v_and_b32_e32 v76, 0xffff, v91
	v_fmac_f16_e32 v91, 0xbcab, v90
	s_delay_alu instid0(VALU_DEP_3) | instskip(NEXT) | instid1(VALU_DEP_1)
	v_add_f16_e64 v130, v128, v14
	v_lshlrev_b32_e32 v14, 16, v130
	v_fmac_f16_e64 v130, 0xbcab, v128
	s_delay_alu instid0(VALU_DEP_2)
	v_or_b32_e32 v14, v14, v76
	ds_store_2addr_b32 v251, v0, v14 offset0:196 offset1:245
	s_clause 0x1
	global_load_b64 v[121:122], v[10:11], off offset:3712
	global_load_b128 v[76:79], v[10:11], off offset:3696
	v_lshrrev_b32_e32 v0, 16, v131
	s_waitcnt vmcnt(1)
	v_lshrrev_b32_e32 v187, 16, v121
	s_waitcnt vmcnt(0)
	v_lshrrev_b32_e32 v160, 16, v76
	v_lshrrev_b32_e32 v230, 16, v77
	;; [unrolled: 1-line block ×5, first 2 shown]
	v_mul_f16_e64 v10, v0, v160
	v_mul_f16_e64 v11, v131, v160
	;; [unrolled: 1-line block ×5, first 2 shown]
	v_fma_f16 v10, v131, v76, -v10
	v_lshrrev_b32_e32 v131, 16, v125
	v_fmac_f16_e32 v11, v0, v76
	v_lshrrev_b32_e32 v0, 16, v1
	v_fma_f16 v140, v127, v121, -v140
	v_mul_f16_e64 v127, v127, v187
	v_mul_f16_e64 v132, v131, v230
	v_fma_f16 v136, v129, v78, -v136
	v_fma_f16 v138, v124, v79, -v138
	v_mul_f16_e64 v129, v129, v231
	v_fmac_f16_e64 v127, v139, v121
	v_fma_f16 v132, v125, v77, -v132
	v_mul_f16_e64 v125, v125, v230
	v_add_f16_e64 v15, v136, v138
	v_mul_f16_e64 v124, v124, v163
	v_fmac_f16_e64 v129, v133, v78
	v_sub_f16_e64 v133, v5, v2
	v_fmac_f16_e64 v125, v131, v77
	v_mul_f16_e64 v131, v0, v198
	v_fmac_f16_e64 v124, v137, v79
	v_sub_f16_e64 v137, v6, v3
	v_sub_f16_e64 v80, v138, v136
	v_add_f16_e32 v12, v125, v127
	v_fma_f16 v131, v1, v122, -v131
	v_mul_f16_e64 v1, v1, v198
	v_sub_f16_e32 v13, v125, v127
	v_add_f16_e64 v90, v129, v124
	v_sub_f16_e64 v124, v124, v129
	v_add_f16_e64 v136, v6, v3
	v_fmac_f16_e32 v1, v0, v122
	v_sub_f16_e32 v0, v4, v8
	v_sub_f16_e32 v4, v7, v9
	v_add_f16_e64 v7, v10, v131
	v_sub_f16_e64 v8, v10, v131
	v_add_f16_e64 v10, v132, v140
	v_add_f16_e32 v9, v11, v1
	v_sub_f16_e64 v131, v92, v126
	v_sub_f16_e32 v1, v11, v1
	v_sub_f16_e64 v11, v132, v140
	v_add_f16_e32 v125, v10, v7
	v_sub_f16_e32 v126, v126, v93
	v_add_f16_e64 v132, v5, v2
	v_sub_f16_e32 v5, v0, v5
	v_sub_f16_e32 v6, v4, v6
	v_add_f16_e32 v125, v15, v125
	v_mul_f16_e64 v131, 0x3a52, v131
	v_mul_f16_e64 v133, 0xb846, v133
	v_mul_f16_e64 v137, 0xb846, v137
	v_add_f16_e64 v132, v132, v0
	v_add_f16_e32 v127, v125, v123
	v_lshrrev_b32_e32 v123, 16, v123
	v_add_f16_e64 v136, v136, v4
	v_fma_f16 v139, 0x2b26, v126, v131
	v_fma_f16 v140, 0x3574, v6, v137
	v_and_b32_e32 v128, 0xffff, v127
	v_fmac_f16_e32 v127, 0xbcab, v125
	v_add_f16_e32 v125, v12, v9
	v_fma_f16 v141, 0x3574, v5, v133
	v_sub_f16_e32 v0, v2, v0
	v_add_f16_e64 v139, v139, v130
	v_fmac_f16_e64 v140, 0x370e, v136
	v_add_f16_e32 v125, v90, v125
	v_fmac_f16_e64 v141, 0x370e, v132
	v_add_f16_e64 v145, v80, v11
	v_sub_f16_e32 v3, v3, v4
	v_mul_f16_e32 v4, 0xbb00, v0
	v_add_f16_e32 v123, v125, v123
	v_sub_f16_e64 v143, v139, v141
	v_sub_f16_e64 v146, v80, v11
	v_sub_f16_e32 v80, v8, v80
	v_add_f16_e64 v145, v145, v8
	v_lshlrev_b32_e32 v129, 16, v123
	v_fmac_f16_e32 v123, 0xbcab, v125
	v_sub_f16_e32 v125, v87, v89
	v_sub_f16_e32 v89, v89, v88
	;; [unrolled: 1-line block ×4, first 2 shown]
	v_fmac_f16_e32 v4, 0xb574, v5
	v_mul_f16_e32 v125, 0x3a52, v125
	v_sub_f16_e32 v5, v11, v8
	v_mul_f16_e32 v8, 0xbb00, v3
	v_sub_f16_e64 v144, v9, v90
	v_sub_f16_e32 v90, v90, v12
	v_fma_f16 v138, 0x2b26, v89, v125
	v_add_f16_e64 v147, v124, v13
	v_fmac_f16_e32 v8, 0xb574, v6
	v_sub_f16_e32 v6, v10, v7
	v_fma_f16 v11, v2, 0xb9e0, -v125
	v_add_f16_e64 v138, v138, v91
	v_sub_f16_e64 v148, v124, v13
	v_sub_f16_e32 v124, v1, v124
	v_add_f16_e64 v147, v147, v1
	v_mul_f16_e64 v146, 0xb846, v146
	v_add_f16_e64 v142, v140, v138
	v_sub_f16_e32 v1, v13, v1
	v_add_f16_e32 v11, v11, v91
	v_fmac_f16_e64 v8, 0x370e, v136
	v_fmac_f16_e64 v4, 0x370e, v132
	v_pack_b32_f16 v142, v142, v143
	v_sub_f16_e64 v143, v7, v15
	v_sub_f16_e32 v7, v12, v9
	v_fma_f16 v12, v87, 0xb9e0, -v131
	v_mul_f16_e32 v9, 0xbb00, v5
	v_sub_f16_e32 v15, v15, v10
	v_mul_f16_e64 v143, 0x3a52, v143
	v_mul_f16_e64 v144, 0x3a52, v144
	v_add_f16_e64 v12, v12, v130
	v_fma_f16 v188, 0x3574, v80, v146
	v_fmac_f16_e32 v9, 0xb574, v80
	v_mul_f16_e32 v10, 0xbb00, v1
	v_add_f16_e32 v13, v8, v11
	v_sub_f16_e32 v80, v12, v4
	v_fma_f16 v88, v7, 0xb9e0, -v144
	v_fmac_f16_e64 v9, 0x370e, v145
	v_fmac_f16_e32 v10, 0xb574, v124
	v_fma_f16 v149, 0x2b26, v15, v143
	v_pack_b32_f16 v13, v13, v80
	v_fma_f16 v80, v6, 0xb9e0, -v143
	v_add_f16_e32 v88, v88, v123
	v_fmac_f16_e64 v10, 0x370e, v147
	v_mul_f16_e32 v15, 0x2b26, v15
	v_mul_f16_e64 v148, 0xb846, v148
	v_add_f16_e32 v80, v80, v127
	v_sub_f16_e32 v93, v88, v9
	v_fma_f16 v0, v0, 0x3b00, -v133
	v_fma_f16 v3, v3, 0x3b00, -v137
	;; [unrolled: 1-line block ×3, first 2 shown]
	v_add_f16_e32 v92, v10, v80
	v_mul_f16_e32 v15, 0x2b26, v90
	v_fmac_f16_e64 v0, 0x370e, v132
	v_fma_f16 v5, v5, 0x3b00, -v146
	v_fma_f16 v1, v1, 0x3b00, -v148
	v_pack_b32_f16 v92, v92, v93
	v_fma_f16 v7, v7, 0x39e0, -v15
	v_fmac_f16_e64 v3, 0x370e, v136
	v_add_f16_e32 v6, v6, v127
	v_fmac_f16_e64 v5, 0x370e, v145
	ds_store_2addr_b32 v196, v13, v92 offset0:163 offset1:212
	v_mul_f16_e32 v13, 0x2b26, v89
	v_add_f16_e32 v7, v7, v123
	v_fmac_f16_e64 v1, 0x370e, v147
	v_fma_f16 v150, 0x2b26, v90, v144
	v_fma_f16 v151, 0x3574, v124, v148
	v_fma_f16 v2, v2, 0x39e0, -v13
	v_mul_f16_e32 v13, 0x2b26, v126
	v_add_f16_e64 v149, v149, v127
	v_add_f16_e64 v150, v150, v123
	v_fmac_f16_e64 v151, 0x370e, v147
	v_add_f16_e32 v2, v2, v91
	v_fma_f16 v13, v87, 0x39e0, -v13
	v_fmac_f16_e64 v188, 0x370e, v145
	v_add_f16_e32 v89, v5, v7
	v_add_f16_e64 v189, v151, v149
	v_sub_f16_e32 v15, v2, v3
	v_add_f16_e64 v13, v13, v130
	v_add_f16_e32 v2, v3, v2
	v_sub_f16_e32 v3, v7, v5
	v_sub_f16_e64 v232, v150, v188
	s_delay_alu instid0(VALU_DEP_4) | instskip(SKIP_1) | instid1(VALU_DEP_3)
	v_add_f16_e32 v87, v0, v13
	v_sub_f16_e32 v0, v13, v0
	v_pack_b32_f16 v189, v189, v232
	s_delay_alu instid0(VALU_DEP_3)
	v_pack_b32_f16 v15, v15, v87
	v_sub_f16_e32 v87, v6, v1
	v_add_f16_e32 v1, v1, v6
	v_pack_b32_f16 v0, v2, v0
	v_sub_f16_e32 v2, v80, v10
	ds_store_2addr_b32 v181, v142, v189 offset0:76 offset1:125
	v_pack_b32_f16 v87, v87, v89
	v_pack_b32_f16 v1, v1, v3
	v_add_f16_e32 v3, v9, v88
	ds_store_2addr_b32 v98, v15, v87 offset0:122 offset1:171
	ds_store_2addr_b32 v195, v0, v1 offset0:81 offset1:130
	v_sub_f16_e32 v0, v11, v8
	v_add_f16_e32 v1, v4, v12
	s_delay_alu instid0(VALU_DEP_1)
	v_pack_b32_f16 v0, v0, v1
	v_pack_b32_f16 v1, v2, v3
	v_sub_f16_e64 v2, v149, v151
	v_add_f16_e64 v3, v188, v150
	ds_store_2addr_b32 v176, v0, v1 offset0:168 offset1:217
	v_sub_f16_e64 v0, v138, v140
	v_add_f16_e64 v1, v141, v139
	s_delay_alu instid0(VALU_DEP_1)
	v_pack_b32_f16 v0, v0, v1
	v_pack_b32_f16 v1, v2, v3
	ds_store_2addr_b32 v233, v0, v1 offset0:127 offset1:176
	v_or_b32_e32 v0, v129, v128
	ds_store_b32 v251, v0 offset:1176
	s_waitcnt lgkmcnt(0)
	s_barrier
	buffer_gl0_inv
	global_load_b32 v123, v[81:82], off offset:1412
	v_add_co_u32 v81, vcc_lo, 0x2584, v134
	v_add_co_ci_u32_e32 v82, vcc_lo, 0, v135, vcc_lo
	s_clause 0x5
	global_load_b32 v4, v[81:82], off offset:1176
	global_load_b32 v5, v[81:82], off offset:1372
	;; [unrolled: 1-line block ×6, first 2 shown]
	ds_load_2addr_b32 v[0:1], v251 offset1:49
	s_waitcnt lgkmcnt(0)
	v_lshrrev_b32_e32 v3, 16, v0
	s_waitcnt vmcnt(6)
	v_lshrrev_b32_e32 v2, 16, v123
	s_delay_alu instid0(VALU_DEP_1) | instskip(NEXT) | instid1(VALU_DEP_3)
	v_mul_f16_e32 v8, v0, v2
	v_mul_f16_e32 v2, v3, v2
	s_delay_alu instid0(VALU_DEP_2) | instskip(NEXT) | instid1(VALU_DEP_2)
	v_fmac_f16_e32 v8, v3, v123
	v_fma_f16 v0, v0, v123, -v2
	v_add_co_u32 v123, vcc_lo, 0x4000, v134
	v_add_co_ci_u32_e32 v124, vcc_lo, 0, v135, vcc_lo
	s_delay_alu instid0(VALU_DEP_3)
	v_pack_b32_f16 v0, v0, v8
	ds_store_b32 v251, v0
	global_load_b32 v0, v[81:82], off offset:980
	ds_load_2addr_b32 v[2:3], v251 offset0:196 offset1:245
	s_waitcnt lgkmcnt(0)
	v_lshrrev_b32_e32 v9, 16, v3
	s_waitcnt vmcnt(0)
	v_lshrrev_b32_e32 v8, 16, v0
	s_delay_alu instid0(VALU_DEP_1) | instskip(NEXT) | instid1(VALU_DEP_3)
	v_mul_f16_e32 v10, v3, v8
	v_mul_f16_e32 v8, v9, v8
	s_delay_alu instid0(VALU_DEP_2) | instskip(NEXT) | instid1(VALU_DEP_2)
	v_fmac_f16_e32 v10, v9, v0
	v_fma_f16 v0, v3, v0, -v8
	ds_load_2addr_b32 v[8:9], v253 offset0:38 offset1:87
	v_lshrrev_b32_e32 v3, 16, v4
	v_pack_b32_f16 v0, v0, v10
	s_waitcnt lgkmcnt(0)
	v_lshrrev_b32_e32 v11, 16, v8
	s_delay_alu instid0(VALU_DEP_3) | instskip(NEXT) | instid1(VALU_DEP_2)
	v_mul_f16_e32 v15, v8, v3
	v_mul_f16_e32 v3, v11, v3
	s_delay_alu instid0(VALU_DEP_2) | instskip(NEXT) | instid1(VALU_DEP_2)
	v_fmac_f16_e32 v15, v11, v4
	v_fma_f16 v3, v8, v4, -v3
	v_add_nc_u32_e32 v4, 0x200, v251
	s_delay_alu instid0(VALU_DEP_2)
	v_pack_b32_f16 v3, v3, v15
	ds_store_2addr_b32 v4, v0, v3 offset0:117 offset1:166
	s_clause 0x6
	global_load_b32 v0, v[123:124], off offset:1452
	global_load_b32 v3, v[123:124], off offset:1648
	;; [unrolled: 1-line block ×7, first 2 shown]
	ds_load_2addr_b32 v[10:11], v186 offset0:10 offset1:59
	global_load_b32 v93, v[123:124], off offset:1060
	s_waitcnt lgkmcnt(0)
	v_lshrrev_b32_e32 v87, 16, v10
	s_waitcnt vmcnt(7)
	v_lshrrev_b32_e32 v80, 16, v0
	s_delay_alu instid0(VALU_DEP_1) | instskip(NEXT) | instid1(VALU_DEP_3)
	v_mul_f16_e32 v89, v10, v80
	v_mul_f16_e32 v80, v87, v80
	s_delay_alu instid0(VALU_DEP_2) | instskip(SKIP_4) | instid1(VALU_DEP_2)
	v_fmac_f16_e32 v89, v87, v0
	ds_load_2addr_b32 v[87:88], v176 offset0:168 offset1:217
	v_fma_f16 v0, v10, v0, -v80
	s_waitcnt vmcnt(1)
	v_lshrrev_b32_e32 v10, 16, v8
	v_pack_b32_f16 v0, v0, v89
	s_waitcnt lgkmcnt(0)
	v_lshrrev_b32_e32 v80, 16, v88
	s_delay_alu instid0(VALU_DEP_3) | instskip(NEXT) | instid1(VALU_DEP_2)
	v_mul_f16_e32 v90, v88, v10
	v_mul_f16_e32 v10, v80, v10
	s_delay_alu instid0(VALU_DEP_2) | instskip(NEXT) | instid1(VALU_DEP_2)
	v_fmac_f16_e32 v90, v80, v8
	v_fma_f16 v8, v88, v8, -v10
	v_add_nc_u32_e32 v10, 0x1e00, v251
	s_delay_alu instid0(VALU_DEP_2) | instskip(SKIP_3) | instid1(VALU_DEP_1)
	v_pack_b32_f16 v8, v8, v90
	ds_store_2addr_b32 v10, v8, v0 offset0:89 offset1:138
	v_lshrrev_b32_e32 v0, 16, v9
	v_lshrrev_b32_e32 v8, 16, v5
	v_mul_f16_e32 v10, v0, v8
	v_mul_f16_e32 v8, v9, v8
	s_delay_alu instid0(VALU_DEP_2) | instskip(NEXT) | instid1(VALU_DEP_2)
	v_fma_f16 v9, v9, v5, -v10
	v_fmac_f16_e32 v8, v0, v5
	v_lshrrev_b32_e32 v0, 16, v1
	v_lshrrev_b32_e32 v5, 16, v6
	s_delay_alu instid0(VALU_DEP_1) | instskip(SKIP_1) | instid1(VALU_DEP_2)
	v_mul_f16_e32 v10, v0, v5
	v_mul_f16_e32 v5, v1, v5
	v_fma_f16 v80, v1, v6, -v10
	s_delay_alu instid0(VALU_DEP_2)
	v_fmac_f16_e32 v5, v0, v6
	s_clause 0x6
	global_load_b32 v6, v[81:82], off offset:1568
	global_load_b32 v10, v[81:82], off offset:2940
	;; [unrolled: 1-line block ×7, first 2 shown]
	ds_load_2addr_b32 v[0:1], v253 offset0:136 offset1:185
	s_waitcnt lgkmcnt(0)
	v_lshrrev_b32_e32 v89, 16, v0
	s_waitcnt vmcnt(6)
	v_lshrrev_b32_e32 v88, 16, v6
	s_delay_alu instid0(VALU_DEP_1) | instskip(NEXT) | instid1(VALU_DEP_3)
	v_mul_f16_e32 v90, v0, v88
	v_mul_f16_e32 v88, v89, v88
	s_delay_alu instid0(VALU_DEP_2) | instskip(NEXT) | instid1(VALU_DEP_2)
	v_fmac_f16_e32 v90, v89, v6
	v_fma_f16 v0, v0, v6, -v88
	v_pack_b32_f16 v6, v9, v8
	ds_load_2addr_b32 v[8:9], v181 offset0:174 offset1:223
	v_pack_b32_f16 v0, v0, v90
	ds_store_2addr_b32 v253, v6, v0 offset0:87 offset1:136
	global_load_b32 v0, v[81:82], off offset:2744
	s_waitcnt lgkmcnt(1)
	v_lshrrev_b32_e32 v88, 16, v8
	s_waitcnt vmcnt(0)
	v_lshrrev_b32_e32 v6, 16, v0
	s_delay_alu instid0(VALU_DEP_1) | instskip(NEXT) | instid1(VALU_DEP_3)
	v_mul_f16_e64 v133, v8, v6
	v_mul_f16_e32 v6, v88, v6
	s_delay_alu instid0(VALU_DEP_2) | instskip(NEXT) | instid1(VALU_DEP_2)
	v_fmac_f16_e64 v133, v88, v0
	v_fma_f16 v6, v8, v0, -v6
	v_lshrrev_b32_e32 v0, 16, v9
	v_lshrrev_b32_e32 v8, 16, v10
	s_delay_alu instid0(VALU_DEP_1) | instskip(SKIP_2) | instid1(VALU_DEP_3)
	v_mul_f16_e32 v88, v0, v8
	v_mul_f16_e64 v136, v9, v8
	v_add_co_u32 v8, vcc_lo, 0x3000, v134
	v_fma_f16 v137, v9, v10, -v88
	v_add_co_ci_u32_e32 v9, vcc_lo, 0, v135, vcc_lo
	s_delay_alu instid0(VALU_DEP_4)
	v_fmac_f16_e64 v136, v0, v10
	s_clause 0x3
	global_load_b32 v0, v[8:9], off offset:1432
	global_load_b32 v10, v[8:9], off offset:1628
	global_load_b32 v134, v[8:9], off offset:1824
	global_load_b32 v135, v[81:82], off offset:3920
	ds_load_2addr_b32 v[88:89], v99 offset0:84 offset1:133
	s_waitcnt lgkmcnt(0)
	v_lshrrev_b32_e32 v125, 16, v89
	s_waitcnt vmcnt(3)
	v_lshrrev_b32_e32 v90, 16, v0
	s_delay_alu instid0(VALU_DEP_1) | instskip(NEXT) | instid1(VALU_DEP_3)
	v_mul_f16_e32 v126, v89, v90
	v_mul_f16_e32 v90, v125, v90
	s_delay_alu instid0(VALU_DEP_2) | instskip(NEXT) | instid1(VALU_DEP_2)
	v_fmac_f16_e32 v126, v125, v0
	v_fma_f16 v0, v89, v0, -v90
	ds_load_2addr_b32 v[89:90], v207 offset0:54 offset1:103
	s_waitcnt vmcnt(2)
	v_lshrrev_b32_e32 v125, 16, v10
	v_pack_b32_f16 v0, v0, v126
	s_waitcnt lgkmcnt(0)
	v_lshrrev_b32_e32 v127, 16, v89
	s_delay_alu instid0(VALU_DEP_3) | instskip(NEXT) | instid1(VALU_DEP_2)
	v_mul_f16_e64 v138, v89, v125
	v_mul_f16_e32 v125, v127, v125
	s_delay_alu instid0(VALU_DEP_2) | instskip(NEXT) | instid1(VALU_DEP_2)
	v_fmac_f16_e64 v138, v127, v10
	v_fma_f16 v10, v89, v10, -v125
	s_delay_alu instid0(VALU_DEP_1)
	v_pack_b32_f16 v10, v10, v138
	ds_store_2addr_b32 v207, v0, v10 offset0:5 offset1:54
	s_clause 0x4
	global_load_b32 v0, v[8:9], off offset:2804
	global_load_b32 v10, v[8:9], off offset:3000
	;; [unrolled: 1-line block ×5, first 2 shown]
	ds_load_2addr_b32 v[125:126], v222 offset0:92 offset1:141
	s_waitcnt lgkmcnt(0)
	v_lshrrev_b32_e32 v140, 16, v125
	s_waitcnt vmcnt(4)
	v_lshrrev_b32_e32 v127, 16, v0
	s_delay_alu instid0(VALU_DEP_1) | instskip(NEXT) | instid1(VALU_DEP_3)
	v_mul_f16_e64 v141, v125, v127
	v_mul_f16_e64 v127, v140, v127
	s_delay_alu instid0(VALU_DEP_2) | instskip(NEXT) | instid1(VALU_DEP_2)
	v_fmac_f16_e64 v141, v140, v0
	v_fma_f16 v140, v125, v0, -v127
	v_lshrrev_b32_e32 v0, 16, v126
	s_waitcnt vmcnt(3)
	v_lshrrev_b32_e32 v125, 16, v10
	s_delay_alu instid0(VALU_DEP_1) | instskip(SKIP_1) | instid1(VALU_DEP_2)
	v_mul_f16_e32 v127, v0, v125
	v_mul_f16_e64 v142, v126, v125
	v_fma_f16 v143, v126, v10, -v127
	s_delay_alu instid0(VALU_DEP_2)
	v_fmac_f16_e64 v142, v0, v10
	s_clause 0x5
	global_load_b32 v0, v[123:124], off offset:80
	global_load_b32 v10, v[123:124], off offset:276
	;; [unrolled: 1-line block ×6, first 2 shown]
	ds_load_2addr_b32 v[125:126], v195 offset0:130 offset1:179
	s_waitcnt lgkmcnt(0)
	v_lshrrev_b32_e32 v148, 16, v126
	s_waitcnt vmcnt(5)
	v_lshrrev_b32_e32 v127, 16, v0
	s_delay_alu instid0(VALU_DEP_1) | instskip(NEXT) | instid1(VALU_DEP_3)
	v_mul_f16_e64 v149, v126, v127
	v_mul_f16_e64 v127, v148, v127
	s_delay_alu instid0(VALU_DEP_2) | instskip(NEXT) | instid1(VALU_DEP_2)
	v_fmac_f16_e64 v149, v148, v0
	v_fma_f16 v0, v126, v0, -v127
	ds_load_2addr_b32 v[126:127], v250 offset0:100 offset1:149
	s_waitcnt vmcnt(4)
	v_lshrrev_b32_e32 v148, 16, v10
	v_pack_b32_f16 v0, v0, v149
	s_waitcnt lgkmcnt(0)
	v_lshrrev_b32_e32 v150, 16, v126
	s_delay_alu instid0(VALU_DEP_3) | instskip(NEXT) | instid1(VALU_DEP_2)
	v_mul_f16_e64 v151, v126, v148
	v_mul_f16_e64 v148, v150, v148
	s_delay_alu instid0(VALU_DEP_2) | instskip(NEXT) | instid1(VALU_DEP_2)
	v_fmac_f16_e64 v151, v150, v10
	v_fma_f16 v10, v126, v10, -v148
	s_delay_alu instid0(VALU_DEP_1) | instskip(SKIP_3) | instid1(VALU_DEP_1)
	v_pack_b32_f16 v10, v10, v151
	ds_store_2addr_b32 v195, v0, v10 offset0:179 offset1:228
	v_lshrrev_b32_e32 v0, 16, v11
	v_lshrrev_b32_e32 v10, 16, v3
	v_mul_f16_e32 v126, v0, v10
	v_mul_f16_e64 v148, v11, v10
	s_delay_alu instid0(VALU_DEP_2)
	v_fma_f16 v126, v11, v3, -v126
	ds_load_2addr_b32 v[10:11], v251 offset0:98 offset1:147
	v_fmac_f16_e64 v148, v0, v3
	v_lshrrev_b32_e32 v0, 16, v7
	s_waitcnt lgkmcnt(0)
	v_lshrrev_b32_e32 v3, 16, v10
	s_delay_alu instid0(VALU_DEP_2) | instskip(NEXT) | instid1(VALU_DEP_2)
	v_mul_f16_e64 v149, v10, v0
	v_mul_f16_e32 v0, v3, v0
	s_delay_alu instid0(VALU_DEP_2) | instskip(SKIP_1) | instid1(VALU_DEP_3)
	v_fmac_f16_e64 v149, v3, v7
	v_pack_b32_f16 v3, v80, v5
	v_fma_f16 v0, v10, v7, -v0
	s_delay_alu instid0(VALU_DEP_1) | instskip(SKIP_3) | instid1(VALU_DEP_1)
	v_pack_b32_f16 v0, v0, v149
	ds_store_2addr_b32 v251, v3, v0 offset0:49 offset1:98
	v_lshrrev_b32_e32 v0, 16, v1
	v_lshrrev_b32_e32 v3, 16, v128
	v_mul_f16_e32 v5, v0, v3
	v_mul_f16_e32 v3, v1, v3
	s_delay_alu instid0(VALU_DEP_2) | instskip(NEXT) | instid1(VALU_DEP_2)
	v_fma_f16 v5, v1, v128, -v5
	v_fmac_f16_e64 v3, v0, v128
	s_clause 0x3
	global_load_b32 v7, v[81:82], off offset:3136
	global_load_b32 v128, v[81:82], off offset:3332
	global_load_b32 v149, v[81:82], off offset:3528
	global_load_b32 v82, v[81:82], off offset:3724
	ds_load_2addr_b32 v[0:1], v196 offset0:16 offset1:65
	v_pack_b32_f16 v3, v5, v3
	s_waitcnt lgkmcnt(0)
	v_lshrrev_b32_e32 v80, 16, v0
	s_waitcnt vmcnt(3)
	v_lshrrev_b32_e32 v10, 16, v7
	s_delay_alu instid0(VALU_DEP_1) | instskip(NEXT) | instid1(VALU_DEP_3)
	v_mul_f16_e32 v81, v0, v10
	v_mul_f16_e32 v10, v80, v10
	s_delay_alu instid0(VALU_DEP_2) | instskip(NEXT) | instid1(VALU_DEP_2)
	v_fmac_f16_e32 v81, v80, v7
	v_fma_f16 v0, v0, v7, -v10
	v_pack_b32_f16 v7, v137, v136
	s_delay_alu instid0(VALU_DEP_2) | instskip(SKIP_4) | instid1(VALU_DEP_1)
	v_pack_b32_f16 v0, v0, v81
	ds_load_2addr_b32 v[80:81], v222 offset0:190 offset1:239
	ds_store_2addr_b32 v100, v7, v0 offset0:95 offset1:144
	v_lshrrev_b32_e32 v0, 16, v90
	v_lshrrev_b32_e32 v7, 16, v134
	v_mul_f16_e32 v10, v0, v7
	v_mul_f16_e32 v7, v90, v7
	s_delay_alu instid0(VALU_DEP_2) | instskip(NEXT) | instid1(VALU_DEP_2)
	v_fma_f16 v136, v90, v134, -v10
	v_fmac_f16_e64 v7, v0, v134
	v_lshrrev_b32_e32 v0, 16, v89
	s_waitcnt lgkmcnt(1)
	v_lshrrev_b32_e32 v10, 16, v80
	s_delay_alu instid0(VALU_DEP_2) | instskip(NEXT) | instid1(VALU_DEP_2)
	v_mul_f16_e32 v90, v80, v0
	v_mul_f16_e32 v0, v10, v0
	s_delay_alu instid0(VALU_DEP_2) | instskip(SKIP_1) | instid1(VALU_DEP_3)
	v_fmac_f16_e32 v90, v10, v89
	v_pack_b32_f16 v10, v143, v142
	v_fma_f16 v0, v80, v89, -v0
	s_delay_alu instid0(VALU_DEP_1) | instskip(SKIP_4) | instid1(VALU_DEP_2)
	v_pack_b32_f16 v0, v0, v90
	ds_load_2addr_b32 v[89:90], v186 offset0:108 offset1:157
	ds_store_2addr_b32 v222, v10, v0 offset0:141 offset1:190
	v_lshrrev_b32_e32 v10, 16, v144
	v_lshrrev_b32_e32 v0, 16, v127
	v_mul_f16_e64 v134, v127, v10
	s_delay_alu instid0(VALU_DEP_2) | instskip(NEXT) | instid1(VALU_DEP_2)
	v_mul_f16_e32 v80, v0, v10
	v_fmac_f16_e64 v134, v0, v144
	v_lshrrev_b32_e32 v0, 16, v4
	s_delay_alu instid0(VALU_DEP_3) | instskip(SKIP_2) | instid1(VALU_DEP_3)
	v_fma_f16 v127, v127, v144, -v80
	s_waitcnt lgkmcnt(1)
	v_lshrrev_b32_e32 v10, 16, v89
	v_mul_f16_e32 v80, v89, v0
	s_delay_alu instid0(VALU_DEP_2) | instskip(NEXT) | instid1(VALU_DEP_2)
	v_mul_f16_e32 v0, v10, v0
	v_fmac_f16_e32 v80, v10, v4
	s_delay_alu instid0(VALU_DEP_2) | instskip(SKIP_1) | instid1(VALU_DEP_2)
	v_fma_f16 v0, v89, v4, -v0
	v_pack_b32_f16 v4, v126, v148
	v_pack_b32_f16 v0, v0, v80
	ds_store_2addr_b32 v186, v4, v0 offset0:59 offset1:108
	v_lshrrev_b32_e32 v0, 16, v11
	v_lshrrev_b32_e32 v4, 16, v12
	s_delay_alu instid0(VALU_DEP_1) | instskip(SKIP_1) | instid1(VALU_DEP_2)
	v_mul_f16_e32 v10, v0, v4
	v_mul_f16_e32 v4, v11, v4
	v_fma_f16 v89, v11, v12, -v10
	ds_load_2addr_b32 v[10:11], v238 offset0:106 offset1:155
	v_fmac_f16_e32 v4, v0, v12
	v_lshrrev_b32_e32 v0, 16, v129
	s_waitcnt lgkmcnt(0)
	v_lshrrev_b32_e32 v12, 16, v10
	s_delay_alu instid0(VALU_DEP_2) | instskip(NEXT) | instid1(VALU_DEP_2)
	v_mul_f16_e32 v80, v10, v0
	v_mul_f16_e32 v0, v12, v0
	s_delay_alu instid0(VALU_DEP_2) | instskip(NEXT) | instid1(VALU_DEP_2)
	v_fmac_f16_e64 v80, v12, v129
	v_fma_f16 v0, v10, v129, -v0
	s_delay_alu instid0(VALU_DEP_1) | instskip(SKIP_4) | instid1(VALU_DEP_1)
	v_pack_b32_f16 v0, v0, v80
	ds_store_2addr_b32 v253, v3, v0 offset0:185 offset1:234
	v_lshrrev_b32_e32 v0, 16, v1
	s_waitcnt vmcnt(2)
	v_lshrrev_b32_e32 v3, 16, v128
	v_mul_f16_e32 v5, v0, v3
	v_mul_f16_e32 v10, v1, v3
	s_clause 0x2
	global_load_b32 v3, v[8:9], off offset:2020
	global_load_b32 v12, v[8:9], off offset:2216
	;; [unrolled: 1-line block ×3, first 2 shown]
	v_fma_f16 v5, v1, v128, -v5
	v_fmac_f16_e64 v10, v0, v128
	ds_load_2addr_b32 v[0:1], v207 offset0:152 offset1:201
	s_waitcnt lgkmcnt(0)
	v_lshrrev_b32_e32 v128, 16, v0
	s_waitcnt vmcnt(2)
	v_lshrrev_b32_e32 v80, 16, v3
	s_delay_alu instid0(VALU_DEP_1) | instskip(NEXT) | instid1(VALU_DEP_3)
	v_mul_f16_e64 v129, v0, v80
	v_mul_f16_e64 v80, v128, v80
	s_delay_alu instid0(VALU_DEP_2) | instskip(NEXT) | instid1(VALU_DEP_2)
	v_fmac_f16_e64 v129, v128, v3
	v_fma_f16 v0, v0, v3, -v80
	v_pack_b32_f16 v3, v136, v7
	s_delay_alu instid0(VALU_DEP_2) | instskip(SKIP_3) | instid1(VALU_DEP_1)
	v_pack_b32_f16 v0, v0, v129
	ds_store_2addr_b32 v207, v3, v0 offset0:103 offset1:152
	v_lshrrev_b32_e32 v0, 16, v81
	v_lshrrev_b32_e32 v3, 16, v138
	v_mul_f16_e32 v7, v0, v3
	v_mul_f16_e64 v128, v81, v3
	s_delay_alu instid0(VALU_DEP_2)
	v_fma_f16 v7, v81, v138, -v7
	ds_load_2addr_b32 v[80:81], v176 offset0:70 offset1:119
	v_fmac_f16_e64 v128, v0, v138
	v_lshrrev_b32_e32 v0, 16, v145
	s_waitcnt lgkmcnt(0)
	v_lshrrev_b32_e32 v3, 16, v80
	s_delay_alu instid0(VALU_DEP_2) | instskip(NEXT) | instid1(VALU_DEP_2)
	v_mul_f16_e64 v129, v80, v0
	v_mul_f16_e32 v0, v3, v0
	s_delay_alu instid0(VALU_DEP_2) | instskip(SKIP_1) | instid1(VALU_DEP_3)
	v_fmac_f16_e64 v129, v3, v145
	v_pack_b32_f16 v3, v127, v134
	v_fma_f16 v0, v80, v145, -v0
	s_delay_alu instid0(VALU_DEP_1) | instskip(SKIP_3) | instid1(VALU_DEP_1)
	v_pack_b32_f16 v0, v0, v129
	ds_store_2addr_b32 v176, v3, v0 offset0:21 offset1:70
	v_lshrrev_b32_e32 v0, 16, v2
	v_lshrrev_b32_e32 v3, 16, v13
	v_mul_f16_e32 v80, v0, v3
	v_mul_f16_e32 v3, v2, v3
	s_delay_alu instid0(VALU_DEP_2) | instskip(NEXT) | instid1(VALU_DEP_2)
	v_fma_f16 v2, v2, v13, -v80
	v_fmac_f16_e32 v3, v0, v13
	v_lshrrev_b32_e32 v0, 16, v90
	v_lshrrev_b32_e32 v13, 16, v15
	s_delay_alu instid0(VALU_DEP_3) | instskip(NEXT) | instid1(VALU_DEP_2)
	v_pack_b32_f16 v2, v2, v3
	v_mul_f16_e32 v80, v0, v13
	v_mul_f16_e32 v13, v90, v13
	s_delay_alu instid0(VALU_DEP_2) | instskip(NEXT) | instid1(VALU_DEP_2)
	v_fma_f16 v80, v90, v15, -v80
	v_fmac_f16_e32 v13, v0, v15
	v_pack_b32_f16 v0, v89, v4
	ds_store_2addr_b32 v251, v0, v2 offset0:147 offset1:196
	v_lshrrev_b32_e32 v0, 16, v11
	v_lshrrev_b32_e32 v2, 16, v130
	s_delay_alu instid0(VALU_DEP_1) | instskip(SKIP_1) | instid1(VALU_DEP_2)
	v_mul_f16_e32 v3, v0, v2
	v_mul_f16_e32 v4, v11, v2
	v_fma_f16 v15, v11, v130, -v3
	ds_load_2addr_b32 v[2:3], v196 offset0:114 offset1:163
	v_fmac_f16_e64 v4, v0, v130
	v_lshrrev_b32_e32 v0, 16, v149
	s_waitcnt lgkmcnt(0)
	v_lshrrev_b32_e32 v11, 16, v2
	s_delay_alu instid0(VALU_DEP_2) | instskip(NEXT) | instid1(VALU_DEP_2)
	v_mul_f16_e32 v89, v2, v0
	v_mul_f16_e32 v0, v11, v0
	s_delay_alu instid0(VALU_DEP_2) | instskip(NEXT) | instid1(VALU_DEP_2)
	v_fmac_f16_e64 v89, v11, v149
	v_fma_f16 v0, v2, v149, -v0
	v_pack_b32_f16 v2, v5, v10
	s_delay_alu instid0(VALU_DEP_2) | instskip(SKIP_4) | instid1(VALU_DEP_1)
	v_pack_b32_f16 v0, v0, v89
	ds_store_2addr_b32 v196, v2, v0 offset0:65 offset1:114
	v_lshrrev_b32_e32 v0, 16, v1
	s_waitcnt vmcnt(1)
	v_lshrrev_b32_e32 v2, 16, v12
	v_mul_f16_e32 v5, v0, v2
	v_mul_f16_e32 v89, v1, v2
	s_delay_alu instid0(VALU_DEP_2) | instskip(NEXT) | instid1(VALU_DEP_2)
	v_fma_f16 v5, v1, v12, -v5
	v_fmac_f16_e32 v89, v0, v12
	s_clause 0x1
	global_load_b32 v2, v[8:9], off offset:3588
	global_load_b32 v12, v[8:9], off offset:3784
	ds_load_2addr_b32 v[0:1], v195 offset0:32 offset1:81
	s_waitcnt lgkmcnt(0)
	v_lshrrev_b32_e32 v9, 16, v0
	s_waitcnt vmcnt(1)
	v_lshrrev_b32_e32 v8, 16, v2
	s_delay_alu instid0(VALU_DEP_1) | instskip(NEXT) | instid1(VALU_DEP_3)
	v_mul_f16_e32 v10, v0, v8
	v_mul_f16_e32 v8, v9, v8
	s_delay_alu instid0(VALU_DEP_2) | instskip(NEXT) | instid1(VALU_DEP_2)
	v_fmac_f16_e32 v10, v9, v2
	v_fma_f16 v0, v0, v2, -v8
	ds_load_2addr_b32 v[8:9], v186 offset0:206 offset1:255
	v_pack_b32_f16 v2, v7, v128
	v_pack_b32_f16 v0, v0, v10
	ds_store_2addr_b32 v101, v2, v0 offset0:111 offset1:160
	v_lshrrev_b32_e32 v2, 16, v146
	v_lshrrev_b32_e32 v0, 16, v81
	s_delay_alu instid0(VALU_DEP_2) | instskip(NEXT) | instid1(VALU_DEP_2)
	v_mul_f16_e32 v90, v81, v2
	v_mul_f16_e32 v7, v0, v2
	s_delay_alu instid0(VALU_DEP_2) | instskip(SKIP_4) | instid1(VALU_DEP_3)
	v_fmac_f16_e64 v90, v0, v146
	v_lshrrev_b32_e32 v0, 16, v91
	s_waitcnt lgkmcnt(1)
	v_lshrrev_b32_e32 v2, 16, v8
	v_fma_f16 v7, v81, v146, -v7
	v_mul_f16_e32 v10, v8, v0
	s_delay_alu instid0(VALU_DEP_3) | instskip(NEXT) | instid1(VALU_DEP_2)
	v_mul_f16_e32 v0, v2, v0
	v_fmac_f16_e32 v10, v2, v91
	s_delay_alu instid0(VALU_DEP_2) | instskip(SKIP_1) | instid1(VALU_DEP_2)
	v_fma_f16 v0, v8, v91, -v0
	v_pack_b32_f16 v2, v80, v13
	v_pack_b32_f16 v0, v0, v10
	ds_load_2addr_b32 v[10:11], v181 offset0:76 offset1:125
	ds_store_2addr_b32 v186, v2, v0 offset0:157 offset1:206
	v_lshrrev_b32_e32 v0, 16, v131
	s_waitcnt lgkmcnt(1)
	v_lshrrev_b32_e32 v2, 16, v10
	s_delay_alu instid0(VALU_DEP_2) | instskip(NEXT) | instid1(VALU_DEP_2)
	v_mul_f16_e32 v8, v10, v0
	v_mul_f16_e32 v0, v2, v0
	s_delay_alu instid0(VALU_DEP_2) | instskip(SKIP_1) | instid1(VALU_DEP_3)
	v_fmac_f16_e64 v8, v2, v131
	v_pack_b32_f16 v2, v15, v4
	v_fma_f16 v0, v10, v131, -v0
	s_delay_alu instid0(VALU_DEP_1) | instskip(SKIP_3) | instid1(VALU_DEP_1)
	v_pack_b32_f16 v0, v0, v8
	ds_store_2addr_b32 v181, v2, v0 offset0:27 offset1:76
	v_lshrrev_b32_e32 v0, 16, v3
	v_lshrrev_b32_e32 v2, 16, v82
	v_mul_f16_e32 v4, v0, v2
	v_mul_f16_e32 v8, v3, v2
	s_delay_alu instid0(VALU_DEP_2)
	v_fma_f16 v4, v3, v82, -v4
	ds_load_2addr_b32 v[2:3], v98 offset0:122 offset1:171
	v_fmac_f16_e32 v8, v0, v82
	v_lshrrev_b32_e32 v0, 16, v126
	s_waitcnt lgkmcnt(0)
	v_lshrrev_b32_e32 v10, 16, v2
	s_delay_alu instid0(VALU_DEP_2) | instskip(NEXT) | instid1(VALU_DEP_2)
	v_mul_f16_e32 v13, v2, v0
	v_mul_f16_e32 v0, v10, v0
	s_delay_alu instid0(VALU_DEP_2) | instskip(SKIP_2) | instid1(VALU_DEP_3)
	v_fmac_f16_e32 v13, v10, v126
	s_waitcnt vmcnt(0)
	v_lshrrev_b32_e32 v10, 16, v12
	v_fma_f16 v0, v2, v126, -v0
	v_pack_b32_f16 v2, v5, v89
	s_delay_alu instid0(VALU_DEP_2) | instskip(SKIP_3) | instid1(VALU_DEP_1)
	v_pack_b32_f16 v0, v0, v13
	ds_store_2addr_b32 v207, v2, v0 offset0:201 offset1:250
	v_lshrrev_b32_e32 v0, 16, v87
	v_lshrrev_b32_e32 v2, 16, v93
	v_mul_f16_e32 v5, v0, v2
	v_mul_f16_e32 v2, v87, v2
	s_delay_alu instid0(VALU_DEP_2) | instskip(NEXT) | instid1(VALU_DEP_2)
	v_fma_f16 v5, v87, v93, -v5
	v_fmac_f16_e32 v2, v0, v93
	v_lshrrev_b32_e32 v0, 16, v1
	s_delay_alu instid0(VALU_DEP_2) | instskip(NEXT) | instid1(VALU_DEP_2)
	v_pack_b32_f16 v2, v5, v2
	v_mul_f16_e32 v13, v0, v10
	v_mul_f16_e32 v10, v1, v10
	s_delay_alu instid0(VALU_DEP_2) | instskip(NEXT) | instid1(VALU_DEP_2)
	v_fma_f16 v1, v1, v12, -v13
	v_fmac_f16_e32 v10, v0, v12
	v_pack_b32_f16 v0, v7, v90
	v_lshrrev_b32_e32 v7, 16, v92
	ds_store_2addr_b32 v176, v0, v2 offset0:119 offset1:168
	v_lshrrev_b32_e32 v0, 16, v11
	v_lshrrev_b32_e32 v2, 16, v132
	s_delay_alu instid0(VALU_DEP_1) | instskip(SKIP_1) | instid1(VALU_DEP_2)
	v_mul_f16_e32 v5, v0, v2
	v_mul_f16_e32 v2, v11, v2
	v_fma_f16 v5, v11, v132, -v5
	s_delay_alu instid0(VALU_DEP_2) | instskip(SKIP_1) | instid1(VALU_DEP_2)
	v_fmac_f16_e64 v2, v0, v132
	v_lshrrev_b32_e32 v0, 16, v9
	v_pack_b32_f16 v2, v5, v2
	s_delay_alu instid0(VALU_DEP_2) | instskip(SKIP_1) | instid1(VALU_DEP_2)
	v_mul_f16_e32 v11, v0, v7
	v_mul_f16_e32 v7, v9, v7
	v_fma_f16 v9, v9, v92, -v11
	s_delay_alu instid0(VALU_DEP_2)
	v_fmac_f16_e32 v7, v0, v92
	v_pack_b32_f16 v0, v6, v133
	v_lshrrev_b32_e32 v6, 16, v139
	ds_store_2addr_b32 v181, v2, v0 offset0:125 offset1:174
	v_lshrrev_b32_e32 v0, 16, v88
	v_lshrrev_b32_e32 v2, 16, v135
	s_delay_alu instid0(VALU_DEP_1) | instskip(SKIP_1) | instid1(VALU_DEP_2)
	v_mul_f16_e32 v5, v0, v2
	v_mul_f16_e32 v2, v88, v2
	v_fma_f16 v5, v88, v135, -v5
	s_delay_alu instid0(VALU_DEP_2) | instskip(SKIP_1) | instid1(VALU_DEP_2)
	v_fmac_f16_e64 v2, v0, v135
	v_lshrrev_b32_e32 v0, 16, v3
	v_pack_b32_f16 v2, v5, v2
	s_delay_alu instid0(VALU_DEP_2) | instskip(SKIP_1) | instid1(VALU_DEP_2)
	v_mul_f16_e32 v11, v0, v6
	v_mul_f16_e32 v6, v3, v6
	v_fma_f16 v3, v3, v139, -v11
	s_delay_alu instid0(VALU_DEP_2)
	v_fmac_f16_e64 v6, v0, v139
	v_pack_b32_f16 v0, v4, v8
	ds_load_b32 v4, v251 offset:9408
	ds_store_2addr_b32 v196, v0, v2 offset0:163 offset1:212
	v_pack_b32_f16 v0, v140, v141
	v_pack_b32_f16 v2, v3, v6
	ds_store_2addr_b32 v222, v2, v0 offset0:43 offset1:92
	v_lshrrev_b32_e32 v0, 16, v125
	v_lshrrev_b32_e32 v2, 16, v147
	s_delay_alu instid0(VALU_DEP_1) | instskip(SKIP_3) | instid1(VALU_DEP_3)
	v_mul_f16_e32 v3, v0, v2
	v_mul_f16_e32 v2, v125, v2
	s_waitcnt lgkmcnt(2)
	v_lshrrev_b32_e32 v5, 16, v4
	v_fma_f16 v3, v125, v147, -v3
	s_delay_alu instid0(VALU_DEP_3) | instskip(SKIP_3) | instid1(VALU_DEP_1)
	v_fmac_f16_e64 v2, v0, v147
	global_load_b32 v0, v[123:124], off offset:2628
	s_waitcnt vmcnt(0)
	v_lshrrev_b32_e32 v6, 16, v0
	v_mul_f16_e32 v8, v5, v6
	v_mul_f16_e32 v6, v4, v6
	s_delay_alu instid0(VALU_DEP_2) | instskip(NEXT) | instid1(VALU_DEP_2)
	v_fma_f16 v4, v4, v0, -v8
	v_fmac_f16_e32 v6, v5, v0
	v_pack_b32_f16 v0, v1, v10
	v_pack_b32_f16 v1, v3, v2
	ds_store_2addr_b32 v195, v0, v1 offset0:81 offset1:130
	v_pack_b32_f16 v0, v9, v7
	v_pack_b32_f16 v1, v4, v6
	ds_store_2addr_b32 v233, v0, v1 offset0:127 offset1:176
	s_waitcnt lgkmcnt(0)
	s_barrier
	buffer_gl0_inv
	ds_load_2addr_b32 v[81:82], v253 offset0:38 offset1:87
	ds_load_2addr_b32 v[131:132], v186 offset0:10 offset1:59
	;; [unrolled: 1-line block ×6, first 2 shown]
	ds_load_2addr_b32 v[138:139], v251 offset1:49
	s_waitcnt lgkmcnt(6)
	v_lshrrev_b32_e32 v0, 16, v82
	s_waitcnt lgkmcnt(5)
	v_lshrrev_b32_e32 v1, 16, v131
	;; [unrolled: 2-line block ×3, first 2 shown]
	v_add_f16_e64 v7, v133, v124
	s_waitcnt lgkmcnt(1)
	v_lshrrev_b32_e32 v5, 16, v135
	v_add_f16_e32 v2, v0, v1
	v_sub_f16_e32 v0, v0, v1
	v_lshrrev_b32_e32 v1, 16, v133
	v_add_f16_e64 v8, v126, v135
	s_delay_alu instid0(VALU_DEP_2) | instskip(SKIP_2) | instid1(VALU_DEP_4)
	v_add_f16_e32 v4, v1, v3
	v_sub_f16_e32 v1, v1, v3
	v_lshrrev_b32_e32 v3, 16, v126
	v_sub_f16_e32 v99, v8, v7
	s_delay_alu instid0(VALU_DEP_4) | instskip(NEXT) | instid1(VALU_DEP_4)
	v_sub_f16_e32 v93, v4, v2
	v_sub_f16_e32 v91, v1, v0
	s_delay_alu instid0(VALU_DEP_4) | instskip(SKIP_2) | instid1(VALU_DEP_4)
	v_add_f16_e32 v6, v3, v5
	v_sub_f16_e32 v3, v5, v3
	v_add_f16_e64 v5, v82, v131
	v_mul_f16_e32 v12, 0x3b00, v91
	s_delay_alu instid0(VALU_DEP_4) | instskip(NEXT) | instid1(VALU_DEP_4)
	v_sub_f16_e32 v92, v6, v4
	v_sub_f16_e32 v127, v0, v3
	s_delay_alu instid0(VALU_DEP_4)
	v_add_f16_e32 v9, v7, v5
	v_sub_f16_e32 v100, v7, v5
	v_sub_f16_e32 v5, v5, v8
	v_sub_f16_e64 v128, v3, v1
	v_fmac_f16_e32 v12, 0x3574, v127
	v_add_f16_e32 v7, v8, v9
	v_add_f16_e32 v8, v4, v2
	v_sub_f16_e32 v2, v2, v6
	v_sub_f16_e64 v9, v82, v131
	v_mul_f16_e64 v129, 0x3a52, v5
	s_waitcnt lgkmcnt(0)
	v_add_f16_e64 v17, v7, v138
	v_add_f16_e32 v4, v6, v8
	v_sub_f16_e64 v6, v133, v124
	v_sub_f16_e64 v8, v135, v126
	v_mul_f16_e64 v130, 0x3a52, v2
	v_and_b32_e32 v124, 0xffff, v17
	v_fmac_f16_e32 v17, 0xbcab, v7
	v_sub_f16_e64 v135, v6, v9
	v_add_f16_e32 v10, v8, v6
	v_sub_f16_e32 v126, v8, v6
	v_add_f16_e32 v6, v3, v1
	v_sub_f16_e32 v8, v9, v8
	v_mul_f16_e64 v16, 0x3b00, v135
	v_add_f16_e64 v133, v10, v9
	v_mul_f16_e64 v82, 0x3846, v128
	v_add_f16_e32 v18, v6, v0
	v_lshrrev_b32_e32 v0, 16, v138
	v_fmac_f16_e32 v16, 0x3574, v8
	v_mul_f16_e32 v7, 0x3846, v126
	v_fma_f16 v2, 0x2b26, v99, v129
	v_fmac_f16_e32 v12, 0xb70e, v18
	v_add_f16_e32 v13, v4, v0
	v_fma_f16 v0, v100, 0xb9e0, -v129
	v_fmac_f16_e64 v16, 0xb70e, v133
	v_fma_f16 v3, 0x2b26, v92, v130
	v_fmamk_f16 v1, v8, 0xb574, v7
	v_lshlrev_b32_e32 v101, 16, v13
	v_fmac_f16_e32 v13, 0xbcab, v4
	v_add_f16_e32 v80, v0, v17
	v_fma_f16 v0, v93, 0xb9e0, -v130
	v_add_f16_e32 v9, v2, v17
	v_fmac_f16_e64 v1, 0xb70e, v133
	v_add_f16_e32 v8, v3, v13
	v_fma_f16 v7, v135, 0xbb00, -v7
	v_add_f16_e32 v19, v0, v13
	v_add_f16_e32 v0, v12, v80
	s_delay_alu instid0(VALU_DEP_4) | instskip(NEXT) | instid1(VALU_DEP_4)
	v_sub_f16_e32 v3, v8, v1
	v_fmac_f16_e64 v7, 0xb70e, v133
	s_delay_alu instid0(VALU_DEP_4) | instskip(SKIP_1) | instid1(VALU_DEP_2)
	v_sub_f16_e64 v131, v19, v16
	v_add_f16_e32 v1, v1, v8
	v_pack_b32_f16 v4, v0, v131
	v_fmamk_f16 v0, v127, 0xb574, v82
	s_delay_alu instid0(VALU_DEP_1) | instskip(NEXT) | instid1(VALU_DEP_1)
	v_fmac_f16_e32 v0, 0xb70e, v18
	v_add_f16_e32 v2, v9, v0
	v_sub_f16_e32 v0, v9, v0
	s_delay_alu instid0(VALU_DEP_2)
	v_pack_b32_f16 v2, v2, v3
	ds_load_b32 v3, v251 offset:9408
	ds_load_2addr_b32 v[232:233], v253 offset0:136 offset1:185
	ds_load_2addr_b32 v[5:6], v207 offset0:54 offset1:103
	;; [unrolled: 1-line block ×17, first 2 shown]
	s_waitcnt lgkmcnt(0)
	s_barrier
	buffer_gl0_inv
	ds_store_2addr_b32 v184, v2, v4 offset0:1 offset1:2
	v_mul_f16_e32 v2, 0x2b26, v99
	v_fma_f16 v4, v91, 0xbb00, -v82
	v_mul_f16_e32 v82, 0x2b26, v92
	v_pack_b32_f16 v0, v0, v1
	v_add_f16_e64 v8, v134, v87
	v_fma_f16 v2, v100, 0x39e0, -v2
	v_fmac_f16_e32 v4, 0xb70e, v18
	v_fma_f16 v82, v93, 0x39e0, -v82
	v_sub_f16_e64 v9, v134, v87
	s_delay_alu instid0(VALU_DEP_4) | instskip(NEXT) | instid1(VALU_DEP_3)
	v_add_f16_e32 v2, v2, v17
	v_add_f16_e32 v13, v82, v13
	s_delay_alu instid0(VALU_DEP_2) | instskip(SKIP_1) | instid1(VALU_DEP_3)
	v_sub_f16_e32 v17, v2, v4
	v_add_f16_e32 v2, v4, v2
	v_sub_f16_e32 v4, v13, v7
	v_add_f16_e32 v7, v7, v13
	s_delay_alu instid0(VALU_DEP_2) | instskip(NEXT) | instid1(VALU_DEP_2)
	v_pack_b32_f16 v2, v2, v4
	v_pack_b32_f16 v4, v17, v7
	v_sub_f16_e64 v17, v136, v5
	ds_store_2addr_b32 v184, v4, v2 offset0:3 offset1:4
	v_sub_f16_e32 v2, v80, v12
	v_add_f16_e32 v4, v16, v19
	v_lshrrev_b32_e32 v12, 16, v87
	v_add_f16_e64 v16, v5, v136
	v_lshrrev_b32_e32 v5, 16, v5
	v_sub_f16_e32 v82, v17, v9
	v_pack_b32_f16 v1, v2, v4
	v_lshrrev_b32_e32 v4, 16, v232
	v_sub_f16_e64 v2, v232, v132
	ds_store_2addr_b32 v184, v1, v0 offset0:5 offset1:6
	v_or_b32_e32 v0, v101, v124
	v_add_f16_e64 v1, v232, v132
	ds_store_b32 v184, v0
	v_lshrrev_b32_e32 v0, 16, v132
	v_sub_f16_e32 v19, v8, v1
	s_delay_alu instid0(VALU_DEP_2) | instskip(SKIP_2) | instid1(VALU_DEP_1)
	v_add_f16_e32 v7, v4, v0
	v_sub_f16_e32 v0, v4, v0
	v_lshrrev_b32_e32 v4, 16, v134
	v_add_f16_e32 v13, v4, v12
	v_sub_f16_e32 v4, v4, v12
	v_lshrrev_b32_e32 v12, 16, v136
	s_delay_alu instid0(VALU_DEP_3) | instskip(NEXT) | instid1(VALU_DEP_2)
	v_sub_f16_e32 v80, v13, v7
	v_add_f16_e32 v18, v5, v12
	v_sub_f16_e32 v5, v12, v5
	v_add_f16_e32 v12, v8, v1
	v_sub_f16_e32 v1, v1, v16
	v_sub_f16_e32 v8, v16, v8
	s_delay_alu instid0(VALU_DEP_4) | instskip(NEXT) | instid1(VALU_DEP_4)
	v_add_f16_e32 v91, v5, v4
	v_add_f16_e32 v12, v16, v12
	;; [unrolled: 1-line block ×3, first 2 shown]
	v_sub_f16_e32 v7, v7, v18
	v_sub_f16_e32 v13, v18, v13
	;; [unrolled: 1-line block ×3, first 2 shown]
	v_add_f16_e64 v87, v12, v139
	v_add_f16_e32 v16, v18, v16
	v_add_f16_e32 v18, v17, v9
	v_sub_f16_e32 v17, v2, v17
	v_sub_f16_e32 v9, v9, v2
	;; [unrolled: 1-line block ×4, first 2 shown]
	v_add_f16_e32 v2, v18, v2
	v_lshrrev_b32_e32 v18, 16, v139
	v_add_f16_e32 v0, v91, v0
	v_and_b32_e32 v91, 0xffff, v87
	v_fmac_f16_e32 v87, 0xbcab, v12
	v_mul_f16_e32 v1, 0x3a52, v1
	v_add_f16_e32 v12, v16, v18
	v_mul_f16_e32 v7, 0x3a52, v7
	s_delay_alu instid0(VALU_DEP_2) | instskip(SKIP_4) | instid1(VALU_DEP_3)
	v_lshlrev_b32_e32 v18, 16, v12
	v_fmac_f16_e32 v12, 0xbcab, v16
	v_mul_f16_e32 v16, 0x2b26, v8
	v_fmamk_f16 v8, v8, 0x2b26, v1
	v_fma_f16 v1, v19, 0xb9e0, -v1
	v_fma_f16 v16, v19, 0x39e0, -v16
	v_mul_f16_e32 v19, 0x3846, v92
	v_mul_f16_e32 v92, 0x3b00, v4
	v_add_f16_e32 v8, v8, v87
	v_add_f16_e32 v1, v1, v87
	;; [unrolled: 1-line block ×3, first 2 shown]
	v_fma_f16 v4, v4, 0xbb00, -v19
	v_fmac_f16_e32 v92, 0x3574, v5
	v_fmamk_f16 v5, v5, 0xb574, v19
	v_mul_f16_e32 v19, 0x2b26, v13
	v_fmamk_f16 v13, v13, 0x2b26, v7
	v_fma_f16 v7, v80, 0xb9e0, -v7
	v_fmac_f16_e32 v4, 0xb70e, v0
	v_fmac_f16_e32 v5, 0xb70e, v0
	v_fma_f16 v19, v80, 0x39e0, -v19
	v_mul_f16_e32 v80, 0x3846, v82
	v_mul_f16_e32 v82, 0x3b00, v9
	v_add_f16_e32 v7, v7, v12
	v_add_f16_e32 v13, v13, v12
	;; [unrolled: 1-line block ×3, first 2 shown]
	v_fma_f16 v9, v9, 0xbb00, -v80
	v_fmac_f16_e32 v82, 0x3574, v17
	v_fmamk_f16 v17, v17, 0xb574, v80
	v_sub_f16_e32 v19, v16, v4
	v_add_f16_e32 v4, v4, v16
	v_fmac_f16_e32 v9, 0xb70e, v2
	v_fmac_f16_e32 v92, 0xb70e, v0
	v_fmac_f16_e32 v17, 0xb70e, v2
	v_fmac_f16_e32 v82, 0xb70e, v2
	s_delay_alu instid0(VALU_DEP_4) | instskip(SKIP_1) | instid1(VALU_DEP_3)
	v_sub_f16_e32 v16, v12, v9
	v_add_f16_e32 v9, v9, v12
	v_add_f16_e32 v12, v82, v7
	s_delay_alu instid0(VALU_DEP_3) | instskip(NEXT) | instid1(VALU_DEP_3)
	v_pack_b32_f16 v0, v4, v16
	v_pack_b32_f16 v2, v19, v9
	v_sub_f16_e32 v4, v8, v5
	v_add_f16_e32 v9, v17, v13
	s_delay_alu instid0(VALU_DEP_1) | instskip(SKIP_1) | instid1(VALU_DEP_1)
	v_pack_b32_f16 v4, v4, v9
	v_sub_f16_e32 v9, v1, v92
	v_pack_b32_f16 v9, v9, v12
	ds_store_2addr_b32 v255, v2, v0 offset0:3 offset1:4
	ds_store_2addr_b32 v255, v9, v4 offset0:5 offset1:6
	v_add_f16_e32 v0, v92, v1
	v_sub_f16_e32 v1, v7, v82
	v_add_f16_e32 v2, v8, v5
	v_sub_f16_e32 v4, v13, v17
	v_lshrrev_b32_e32 v9, 16, v10
	v_add_f16_e32 v7, v10, v88
	v_pack_b32_f16 v0, v0, v1
	v_sub_f16_e32 v8, v10, v88
	v_pack_b32_f16 v1, v2, v4
	v_or_b32_e32 v2, v18, v91
	ds_store_2addr_b32 v255, v1, v0 offset0:1 offset1:2
	ds_store_b32 v255, v2
	v_lshrrev_b32_e32 v0, 16, v233
	v_lshrrev_b32_e32 v4, 16, v14
	v_add_f16_e64 v1, v233, v14
	v_lshrrev_b32_e32 v13, 16, v188
	v_sub_f16_e64 v2, v233, v14
	v_add_f16_e64 v12, v6, v188
	v_add_f16_e32 v5, v0, v4
	v_sub_f16_e32 v0, v0, v4
	v_lshrrev_b32_e32 v4, 16, v88
	v_sub_f16_e32 v16, v7, v1
	s_delay_alu instid0(VALU_DEP_2) | instskip(SKIP_3) | instid1(VALU_DEP_4)
	v_add_f16_e32 v10, v9, v4
	v_sub_f16_e32 v4, v9, v4
	v_lshrrev_b32_e32 v9, 16, v6
	v_sub_f16_e64 v6, v188, v6
	v_sub_f16_e32 v17, v10, v5
	s_delay_alu instid0(VALU_DEP_3)
	v_add_f16_e32 v14, v9, v13
	v_sub_f16_e32 v9, v13, v9
	v_add_f16_e32 v13, v7, v1
	v_sub_f16_e32 v1, v1, v12
	v_sub_f16_e32 v7, v12, v7
	;; [unrolled: 1-line block ×4, first 2 shown]
	v_add_f16_e32 v12, v12, v13
	v_add_f16_e32 v13, v10, v5
	v_sub_f16_e32 v5, v5, v14
	v_sub_f16_e32 v10, v14, v10
	v_mul_f16_e32 v1, 0x3a52, v1
	s_delay_alu instid0(VALU_DEP_4) | instskip(SKIP_4) | instid1(VALU_DEP_4)
	v_add_f16_e32 v13, v14, v13
	v_add_f16_e32 v14, v6, v8
	v_sub_f16_e32 v6, v2, v6
	v_sub_f16_e32 v8, v8, v2
	v_mul_f16_e32 v5, 0x3a52, v5
	v_add_f16_e32 v2, v14, v2
	v_add_f16_e32 v14, v9, v4
	v_sub_f16_e32 v9, v0, v9
	v_sub_f16_e32 v4, v4, v0
	s_delay_alu instid0(VALU_DEP_3) | instskip(SKIP_1) | instid1(VALU_DEP_1)
	v_add_f16_e32 v0, v14, v0
	v_add_f16_e32 v14, v12, v89
	v_and_b32_e32 v80, 0xffff, v14
	v_fmac_f16_e32 v14, 0xbcab, v12
	v_lshrrev_b32_e32 v12, 16, v89
	s_delay_alu instid0(VALU_DEP_1) | instskip(NEXT) | instid1(VALU_DEP_1)
	v_add_f16_e32 v12, v13, v12
	v_lshlrev_b32_e32 v82, 16, v12
	v_fmac_f16_e32 v12, 0xbcab, v13
	v_mul_f16_e32 v13, 0x2b26, v7
	v_fmamk_f16 v7, v7, 0x2b26, v1
	v_fma_f16 v1, v16, 0xb9e0, -v1
	s_delay_alu instid0(VALU_DEP_3) | instskip(SKIP_2) | instid1(VALU_DEP_4)
	v_fma_f16 v13, v16, 0x39e0, -v13
	v_mul_f16_e32 v16, 0x3846, v19
	v_mul_f16_e32 v19, 0x3b00, v4
	v_add_f16_e32 v1, v1, v14
	v_add_f16_e32 v7, v7, v14
	;; [unrolled: 1-line block ×3, first 2 shown]
	v_fma_f16 v4, v4, 0xbb00, -v16
	v_fmac_f16_e32 v19, 0x3574, v9
	v_fmamk_f16 v9, v9, 0xb574, v16
	v_mul_f16_e32 v16, 0x2b26, v10
	v_fmamk_f16 v10, v10, 0x2b26, v5
	v_fma_f16 v5, v17, 0xb9e0, -v5
	v_fmac_f16_e32 v4, 0xb70e, v0
	v_fmac_f16_e32 v9, 0xb70e, v0
	v_fma_f16 v16, v17, 0x39e0, -v16
	v_mul_f16_e32 v17, 0x3846, v18
	v_mul_f16_e32 v18, 0x3b00, v8
	v_add_f16_e32 v5, v5, v12
	v_add_f16_e32 v10, v10, v12
	;; [unrolled: 1-line block ×3, first 2 shown]
	v_fma_f16 v8, v8, 0xbb00, -v17
	v_fmac_f16_e32 v18, 0x3574, v6
	v_fmamk_f16 v6, v6, 0xb574, v17
	v_sub_f16_e32 v14, v13, v4
	v_add_f16_e32 v4, v4, v13
	v_fmac_f16_e32 v8, 0xb70e, v2
	v_fmac_f16_e32 v19, 0xb70e, v0
	;; [unrolled: 1-line block ×4, first 2 shown]
	s_delay_alu instid0(VALU_DEP_4) | instskip(SKIP_1) | instid1(VALU_DEP_3)
	v_sub_f16_e32 v13, v12, v8
	v_add_f16_e32 v8, v8, v12
	v_add_f16_e32 v12, v18, v5
	s_delay_alu instid0(VALU_DEP_3) | instskip(NEXT) | instid1(VALU_DEP_3)
	v_pack_b32_f16 v0, v4, v13
	v_pack_b32_f16 v2, v14, v8
	v_sub_f16_e32 v4, v7, v9
	v_add_f16_e32 v8, v6, v10
	s_delay_alu instid0(VALU_DEP_1) | instskip(SKIP_1) | instid1(VALU_DEP_1)
	v_pack_b32_f16 v4, v4, v8
	v_sub_f16_e32 v8, v1, v19
	v_pack_b32_f16 v8, v8, v12
	ds_store_2addr_b32 v219, v2, v0 offset0:3 offset1:4
	ds_store_2addr_b32 v219, v8, v4 offset0:5 offset1:6
	v_add_f16_e32 v0, v19, v1
	v_sub_f16_e32 v1, v5, v18
	v_add_f16_e32 v2, v7, v9
	v_sub_f16_e32 v4, v10, v6
	v_lshrrev_b32_e32 v8, 16, v148
	v_add_f16_e64 v6, v11, v148
	v_pack_b32_f16 v0, v0, v1
	v_lshrrev_b32_e32 v12, 16, v146
	v_pack_b32_f16 v1, v2, v4
	v_or_b32_e32 v2, v82, v80
	ds_store_2addr_b32 v219, v1, v0 offset0:1 offset1:2
	ds_store_b32 v219, v2
	v_lshrrev_b32_e32 v0, 16, v15
	v_lshrrev_b32_e32 v4, 16, v150
	v_add_f16_e64 v1, v150, v15
	v_add_f16_e64 v10, v146, v189
	v_sub_f16_e64 v7, v11, v148
	v_sub_f16_e64 v2, v150, v15
	v_add_f16_e32 v5, v4, v0
	v_sub_f16_e32 v0, v4, v0
	v_lshrrev_b32_e32 v4, 16, v11
	v_sub_f16_e64 v11, v189, v146
	v_sub_f16_e32 v14, v6, v1
	s_delay_alu instid0(VALU_DEP_3) | instskip(SKIP_3) | instid1(VALU_DEP_4)
	v_add_f16_e32 v9, v4, v8
	v_sub_f16_e32 v4, v4, v8
	v_lshrrev_b32_e32 v8, 16, v189
	v_sub_f16_e32 v16, v11, v7
	v_sub_f16_e32 v15, v9, v5
	s_delay_alu instid0(VALU_DEP_3) | instskip(SKIP_4) | instid1(VALU_DEP_4)
	v_add_f16_e32 v13, v12, v8
	v_sub_f16_e32 v8, v8, v12
	v_add_f16_e32 v12, v6, v1
	v_sub_f16_e32 v1, v1, v10
	v_sub_f16_e32 v6, v10, v6
	v_add_f16_e32 v18, v8, v4
	s_delay_alu instid0(VALU_DEP_4)
	v_add_f16_e32 v10, v10, v12
	v_add_f16_e32 v12, v9, v5
	v_sub_f16_e32 v5, v5, v13
	v_sub_f16_e32 v9, v13, v9
	;; [unrolled: 1-line block ×3, first 2 shown]
	v_add_f16_e32 v17, v10, v90
	v_add_f16_e32 v12, v13, v12
	v_add_f16_e32 v13, v11, v7
	v_sub_f16_e32 v11, v2, v11
	v_sub_f16_e32 v7, v7, v2
	;; [unrolled: 1-line block ×4, first 2 shown]
	v_add_f16_e32 v2, v13, v2
	v_lshrrev_b32_e32 v13, 16, v90
	v_add_f16_e32 v0, v18, v0
	v_and_b32_e32 v18, 0xffff, v17
	v_fmac_f16_e32 v17, 0xbcab, v10
	v_mul_f16_e32 v1, 0x3a52, v1
	v_add_f16_e32 v10, v12, v13
	v_mul_f16_e32 v5, 0x3a52, v5
	s_delay_alu instid0(VALU_DEP_2) | instskip(SKIP_4) | instid1(VALU_DEP_3)
	v_lshlrev_b32_e32 v13, 16, v10
	v_fmac_f16_e32 v10, 0xbcab, v12
	v_mul_f16_e32 v12, 0x2b26, v6
	v_fmamk_f16 v6, v6, 0x2b26, v1
	v_fma_f16 v1, v14, 0xb9e0, -v1
	v_fma_f16 v12, v14, 0x39e0, -v12
	v_mul_f16_e32 v14, 0x3846, v19
	v_mul_f16_e32 v19, 0x3b00, v4
	v_add_f16_e32 v6, v6, v17
	v_add_f16_e32 v1, v1, v17
	;; [unrolled: 1-line block ×3, first 2 shown]
	v_fma_f16 v4, v4, 0xbb00, -v14
	v_fmac_f16_e32 v19, 0x3574, v8
	v_fmamk_f16 v8, v8, 0xb574, v14
	v_mul_f16_e32 v14, 0x2b26, v9
	v_fmamk_f16 v9, v9, 0x2b26, v5
	v_fma_f16 v5, v15, 0xb9e0, -v5
	v_fmac_f16_e32 v4, 0xb70e, v0
	v_fmac_f16_e32 v8, 0xb70e, v0
	v_fma_f16 v14, v15, 0x39e0, -v14
	v_mul_f16_e32 v15, 0x3846, v16
	v_mul_f16_e32 v16, 0x3b00, v7
	v_add_f16_e32 v5, v5, v10
	v_add_f16_e32 v9, v9, v10
	;; [unrolled: 1-line block ×3, first 2 shown]
	v_fma_f16 v7, v7, 0xbb00, -v15
	v_fmac_f16_e32 v16, 0x3574, v11
	v_fmamk_f16 v11, v11, 0xb574, v15
	v_sub_f16_e32 v14, v12, v4
	v_add_f16_e32 v4, v4, v12
	v_fmac_f16_e32 v7, 0xb70e, v2
	v_fmac_f16_e32 v19, 0xb70e, v0
	;; [unrolled: 1-line block ×4, first 2 shown]
	s_delay_alu instid0(VALU_DEP_4) | instskip(SKIP_1) | instid1(VALU_DEP_3)
	v_sub_f16_e32 v12, v10, v7
	v_add_f16_e32 v7, v7, v10
	v_add_f16_e32 v10, v16, v5
	s_delay_alu instid0(VALU_DEP_3) | instskip(NEXT) | instid1(VALU_DEP_3)
	v_pack_b32_f16 v0, v4, v12
	v_pack_b32_f16 v2, v14, v7
	v_sub_f16_e32 v4, v6, v8
	v_add_f16_e32 v7, v11, v9
	v_lshrrev_b32_e32 v12, 16, v140
	s_delay_alu instid0(VALU_DEP_2) | instskip(SKIP_1) | instid1(VALU_DEP_1)
	v_pack_b32_f16 v4, v4, v7
	v_sub_f16_e32 v7, v1, v19
	v_pack_b32_f16 v7, v7, v10
	ds_store_2addr_b32 v210, v2, v0 offset0:3 offset1:4
	ds_store_2addr_b32 v210, v7, v4 offset0:5 offset1:6
	v_add_f16_e32 v0, v19, v1
	v_sub_f16_e32 v1, v5, v16
	v_add_f16_e32 v2, v6, v8
	v_sub_f16_e32 v4, v9, v11
	v_lshrrev_b32_e32 v8, 16, v142
	v_add_f16_e64 v6, v142, v149
	v_pack_b32_f16 v0, v0, v1
	v_add_f16_e64 v10, v147, v140
	v_pack_b32_f16 v1, v2, v4
	v_or_b32_e32 v2, v13, v18
	ds_store_2addr_b32 v210, v1, v0 offset0:1 offset1:2
	ds_store_b32 v210, v2
	v_lshrrev_b32_e32 v0, 16, v151
	v_lshrrev_b32_e32 v4, 16, v144
	v_add_f16_e64 v1, v151, v144
	v_sub_f16_e64 v7, v142, v149
	v_sub_f16_e64 v11, v140, v147
	;; [unrolled: 1-line block ×3, first 2 shown]
	v_add_f16_e32 v5, v0, v4
	v_sub_f16_e32 v0, v0, v4
	v_lshrrev_b32_e32 v4, 16, v149
	v_sub_f16_e32 v14, v6, v1
	v_sub_f16_e32 v16, v11, v7
	s_delay_alu instid0(VALU_DEP_3) | instskip(SKIP_2) | instid1(VALU_DEP_3)
	v_add_f16_e32 v9, v8, v4
	v_sub_f16_e32 v4, v8, v4
	v_lshrrev_b32_e32 v8, 16, v147
	v_sub_f16_e32 v15, v9, v5
	s_delay_alu instid0(VALU_DEP_2) | instskip(SKIP_4) | instid1(VALU_DEP_4)
	v_add_f16_e32 v13, v8, v12
	v_sub_f16_e32 v8, v12, v8
	v_add_f16_e32 v12, v6, v1
	v_sub_f16_e32 v1, v1, v10
	v_sub_f16_e32 v6, v10, v6
	;; [unrolled: 1-line block ×3, first 2 shown]
	s_delay_alu instid0(VALU_DEP_4) | instskip(SKIP_4) | instid1(VALU_DEP_4)
	v_add_f16_e32 v10, v10, v12
	v_add_f16_e32 v12, v9, v5
	v_sub_f16_e32 v5, v5, v13
	v_sub_f16_e32 v9, v13, v9
	v_mul_f16_e32 v1, 0x3a52, v1
	v_add_f16_e32 v12, v13, v12
	v_add_f16_e32 v13, v11, v7
	v_sub_f16_e32 v11, v2, v11
	v_sub_f16_e32 v7, v7, v2
	v_mul_f16_e32 v5, 0x3a52, v5
	s_delay_alu instid0(VALU_DEP_4) | instskip(SKIP_3) | instid1(VALU_DEP_3)
	v_add_f16_e32 v2, v13, v2
	v_add_f16_e32 v13, v8, v4
	v_sub_f16_e32 v8, v0, v8
	v_sub_f16_e32 v4, v4, v0
	v_add_f16_e32 v0, v13, v0
	v_add_f16_e64 v13, v10, v137
	s_delay_alu instid0(VALU_DEP_1) | instskip(SKIP_2) | instid1(VALU_DEP_1)
	v_and_b32_e32 v18, 0xffff, v13
	v_fmac_f16_e32 v13, 0xbcab, v10
	v_lshrrev_b32_e32 v10, 16, v137
	v_add_f16_e32 v10, v12, v10
	s_delay_alu instid0(VALU_DEP_1) | instskip(SKIP_4) | instid1(VALU_DEP_3)
	v_lshlrev_b32_e32 v19, 16, v10
	v_fmac_f16_e32 v10, 0xbcab, v12
	v_mul_f16_e32 v12, 0x2b26, v6
	v_fmamk_f16 v6, v6, 0x2b26, v1
	v_fma_f16 v1, v14, 0xb9e0, -v1
	v_fma_f16 v12, v14, 0x39e0, -v12
	v_mul_f16_e32 v14, 0x3846, v17
	v_mul_f16_e32 v17, 0x3b00, v4
	s_delay_alu instid0(VALU_DEP_4)
	v_add_f16_e32 v1, v1, v13
	v_add_f16_e32 v6, v6, v13
	;; [unrolled: 1-line block ×3, first 2 shown]
	v_fma_f16 v4, v4, 0xbb00, -v14
	v_fmac_f16_e32 v17, 0x3574, v8
	v_fmamk_f16 v8, v8, 0xb574, v14
	v_mul_f16_e32 v14, 0x2b26, v9
	v_fmamk_f16 v9, v9, 0x2b26, v5
	v_fma_f16 v5, v15, 0xb9e0, -v5
	v_fmac_f16_e32 v4, 0xb70e, v0
	v_fmac_f16_e32 v8, 0xb70e, v0
	v_fma_f16 v14, v15, 0x39e0, -v14
	v_mul_f16_e32 v15, 0x3846, v16
	v_mul_f16_e32 v16, 0x3b00, v7
	v_add_f16_e32 v5, v5, v10
	v_add_f16_e32 v9, v9, v10
	;; [unrolled: 1-line block ×3, first 2 shown]
	v_fma_f16 v7, v7, 0xbb00, -v15
	v_fmac_f16_e32 v16, 0x3574, v11
	v_fmamk_f16 v11, v11, 0xb574, v15
	v_sub_f16_e32 v13, v12, v4
	v_add_f16_e32 v4, v4, v12
	v_fmac_f16_e32 v7, 0xb70e, v2
	v_fmac_f16_e32 v17, 0xb70e, v0
	;; [unrolled: 1-line block ×4, first 2 shown]
	s_delay_alu instid0(VALU_DEP_4) | instskip(SKIP_1) | instid1(VALU_DEP_3)
	v_sub_f16_e32 v12, v10, v7
	v_add_f16_e32 v7, v7, v10
	v_add_f16_e32 v10, v16, v5
	s_delay_alu instid0(VALU_DEP_3) | instskip(NEXT) | instid1(VALU_DEP_3)
	v_pack_b32_f16 v0, v4, v12
	v_pack_b32_f16 v2, v13, v7
	v_sub_f16_e32 v4, v6, v8
	v_add_f16_e32 v7, v11, v9
	v_lshrrev_b32_e32 v12, 16, v130
	s_delay_alu instid0(VALU_DEP_2) | instskip(SKIP_1) | instid1(VALU_DEP_1)
	v_pack_b32_f16 v4, v4, v7
	v_sub_f16_e32 v7, v1, v17
	v_pack_b32_f16 v7, v7, v10
	ds_store_2addr_b32 v201, v2, v0 offset0:3 offset1:4
	ds_store_2addr_b32 v201, v7, v4 offset0:5 offset1:6
	v_add_f16_e32 v0, v17, v1
	v_sub_f16_e32 v1, v5, v16
	v_add_f16_e32 v2, v6, v8
	v_sub_f16_e32 v4, v9, v11
	v_lshrrev_b32_e32 v8, 16, v128
	v_add_f16_e64 v6, v143, v128
	v_pack_b32_f16 v0, v0, v1
	v_add_f16_e64 v10, v130, v141
	v_pack_b32_f16 v1, v2, v4
	v_or_b32_e32 v2, v19, v18
	ds_store_2addr_b32 v201, v1, v0 offset0:1 offset1:2
	ds_store_b32 v201, v2
	v_lshrrev_b32_e32 v0, 16, v145
	v_lshrrev_b32_e32 v4, 16, v126
	v_add_f16_e64 v1, v126, v145
	v_sub_f16_e64 v7, v143, v128
	v_sub_f16_e64 v11, v141, v130
	;; [unrolled: 1-line block ×3, first 2 shown]
	v_add_f16_e32 v5, v4, v0
	v_sub_f16_e32 v0, v4, v0
	v_lshrrev_b32_e32 v4, 16, v143
	v_sub_f16_e32 v14, v6, v1
	v_sub_f16_e32 v16, v11, v7
	s_delay_alu instid0(VALU_DEP_3) | instskip(SKIP_2) | instid1(VALU_DEP_3)
	v_add_f16_e32 v9, v4, v8
	v_sub_f16_e32 v4, v4, v8
	v_lshrrev_b32_e32 v8, 16, v141
	v_sub_f16_e32 v15, v9, v5
	s_delay_alu instid0(VALU_DEP_2) | instskip(SKIP_4) | instid1(VALU_DEP_4)
	v_add_f16_e32 v13, v12, v8
	v_sub_f16_e32 v8, v8, v12
	v_add_f16_e32 v12, v6, v1
	v_sub_f16_e32 v1, v1, v10
	v_sub_f16_e32 v6, v10, v6
	v_add_f16_e32 v18, v8, v4
	s_delay_alu instid0(VALU_DEP_4)
	v_add_f16_e32 v10, v10, v12
	v_add_f16_e32 v12, v9, v5
	v_sub_f16_e32 v5, v5, v13
	v_sub_f16_e32 v9, v13, v9
	v_sub_f16_e32 v19, v8, v4
	v_add_f16_e64 v17, v10, v138
	v_add_f16_e32 v12, v13, v12
	v_add_f16_e32 v13, v11, v7
	v_sub_f16_e32 v11, v2, v11
	v_sub_f16_e32 v7, v7, v2
	;; [unrolled: 1-line block ×4, first 2 shown]
	v_add_f16_e32 v2, v13, v2
	v_lshrrev_b32_e32 v13, 16, v138
	v_add_f16_e32 v0, v18, v0
	v_and_b32_e32 v18, 0xffff, v17
	v_fmac_f16_e32 v17, 0xbcab, v10
	v_mul_f16_e32 v1, 0x3a52, v1
	v_add_f16_e32 v10, v12, v13
	v_mul_f16_e32 v5, 0x3a52, v5
	s_delay_alu instid0(VALU_DEP_2) | instskip(SKIP_4) | instid1(VALU_DEP_3)
	v_lshlrev_b32_e32 v13, 16, v10
	v_fmac_f16_e32 v10, 0xbcab, v12
	v_mul_f16_e32 v12, 0x2b26, v6
	v_fmamk_f16 v6, v6, 0x2b26, v1
	v_fma_f16 v1, v14, 0xb9e0, -v1
	v_fma_f16 v12, v14, 0x39e0, -v12
	v_mul_f16_e32 v14, 0x3846, v19
	v_mul_f16_e32 v19, 0x3b00, v4
	v_add_f16_e32 v6, v6, v17
	v_add_f16_e32 v1, v1, v17
	;; [unrolled: 1-line block ×3, first 2 shown]
	v_fma_f16 v4, v4, 0xbb00, -v14
	v_fmac_f16_e32 v19, 0x3574, v8
	v_fmamk_f16 v8, v8, 0xb574, v14
	v_mul_f16_e32 v14, 0x2b26, v9
	v_fmamk_f16 v9, v9, 0x2b26, v5
	v_fma_f16 v5, v15, 0xb9e0, -v5
	v_fmac_f16_e32 v4, 0xb70e, v0
	v_fmac_f16_e32 v8, 0xb70e, v0
	v_fma_f16 v14, v15, 0x39e0, -v14
	v_mul_f16_e32 v15, 0x3846, v16
	v_mul_f16_e32 v16, 0x3b00, v7
	v_add_f16_e32 v5, v5, v10
	v_add_f16_e32 v9, v9, v10
	;; [unrolled: 1-line block ×3, first 2 shown]
	v_fma_f16 v7, v7, 0xbb00, -v15
	v_fmac_f16_e32 v16, 0x3574, v11
	v_fmamk_f16 v11, v11, 0xb574, v15
	v_sub_f16_e32 v14, v12, v4
	v_add_f16_e32 v4, v4, v12
	v_fmac_f16_e32 v7, 0xb70e, v2
	v_fmac_f16_e32 v19, 0xb70e, v0
	;; [unrolled: 1-line block ×4, first 2 shown]
	s_delay_alu instid0(VALU_DEP_4) | instskip(SKIP_1) | instid1(VALU_DEP_3)
	v_sub_f16_e32 v12, v10, v7
	v_add_f16_e32 v7, v7, v10
	v_add_f16_e32 v10, v16, v5
	s_delay_alu instid0(VALU_DEP_3) | instskip(NEXT) | instid1(VALU_DEP_3)
	v_pack_b32_f16 v0, v4, v12
	v_pack_b32_f16 v2, v14, v7
	v_sub_f16_e32 v4, v6, v8
	v_add_f16_e32 v7, v11, v9
	s_delay_alu instid0(VALU_DEP_1) | instskip(SKIP_1) | instid1(VALU_DEP_1)
	v_pack_b32_f16 v4, v4, v7
	v_sub_f16_e32 v7, v1, v19
	v_pack_b32_f16 v7, v7, v10
	ds_store_2addr_b32 v197, v2, v0 offset0:3 offset1:4
	ds_store_2addr_b32 v197, v7, v4 offset0:5 offset1:6
	v_add_f16_e32 v0, v19, v1
	v_sub_f16_e32 v1, v5, v16
	v_add_f16_e32 v2, v6, v8
	v_sub_f16_e32 v4, v9, v11
	v_lshrrev_b32_e32 v5, 16, v125
	v_add_f16_e64 v6, v125, v129
	v_pack_b32_f16 v0, v0, v1
	v_lshrrev_b32_e32 v8, 16, v129
	v_pack_b32_f16 v1, v2, v4
	v_or_b32_e32 v2, v13, v18
	ds_store_2addr_b32 v197, v1, v0 offset0:1 offset1:2
	ds_store_b32 v197, v2
	v_lshrrev_b32_e32 v0, 16, v131
	v_lshrrev_b32_e32 v4, 16, v123
	v_lshrrev_b32_e32 v9, 16, v127
	v_add_f16_e32 v10, v127, v3
	v_sub_f16_e32 v11, v127, v3
	v_lshrrev_b32_e32 v3, 16, v3
	v_add_f16_e64 v1, v131, v123
	v_sub_f16_e64 v2, v123, v131
	v_sub_f16_e64 v7, v125, v129
	v_sub_f16_e32 v13, v6, v10
	v_add_f16_e32 v12, v9, v3
	v_sub_f16_e32 v3, v9, v3
	v_add_f16_e32 v9, v5, v8
	;; [unrolled: 2-line block ×4, first 2 shown]
	v_sub_f16_e32 v10, v10, v1
	v_sub_f16_e32 v6, v1, v6
	;; [unrolled: 1-line block ×4, first 2 shown]
	v_add_f16_e32 v1, v1, v4
	v_add_f16_e32 v4, v9, v12
	v_sub_f16_e32 v12, v12, v8
	v_sub_f16_e32 v9, v8, v9
	v_add_f16_e32 v17, v0, v5
	v_add_f16_e32 v16, v1, v81
	;; [unrolled: 1-line block ×4, first 2 shown]
	v_sub_f16_e32 v2, v11, v2
	v_sub_f16_e32 v7, v7, v11
	;; [unrolled: 1-line block ×4, first 2 shown]
	v_add_f16_e32 v8, v8, v11
	v_lshrrev_b32_e32 v11, 16, v81
	v_sub_f16_e32 v5, v5, v3
	v_add_f16_e32 v3, v17, v3
	v_and_b32_e32 v17, 0xffff, v16
	v_fmac_f16_e32 v16, 0xbcab, v1
	v_add_f16_e32 v1, v4, v11
	v_mul_f16_e32 v12, 0x3a52, v12
	v_lshrrev_b32_e32 v19, 16, v237
	s_delay_alu instid0(VALU_DEP_3) | instskip(SKIP_3) | instid1(VALU_DEP_2)
	v_lshlrev_b32_e32 v11, 16, v1
	v_fmac_f16_e32 v1, 0xbcab, v4
	v_mul_f16_e32 v4, 0x3a52, v10
	v_mul_f16_e32 v10, 0x2b26, v6
	v_fmamk_f16 v6, v6, 0x2b26, v4
	v_fma_f16 v4, v13, 0xb9e0, -v4
	s_delay_alu instid0(VALU_DEP_3)
	v_fma_f16 v10, v13, 0x39e0, -v10
	v_mul_f16_e32 v13, 0x3846, v18
	v_mul_f16_e32 v18, 0x3b00, v5
	v_add_f16_e32 v6, v6, v16
	v_add_f16_e32 v4, v4, v16
	;; [unrolled: 1-line block ×3, first 2 shown]
	v_fma_f16 v5, v5, 0xbb00, -v13
	v_fmac_f16_e32 v18, 0x3574, v0
	v_fmamk_f16 v0, v0, 0xb574, v13
	v_mul_f16_e32 v13, 0x2b26, v9
	v_fmamk_f16 v9, v9, 0x2b26, v12
	v_fma_f16 v12, v14, 0xb9e0, -v12
	v_fmac_f16_e32 v5, 0xb70e, v3
	v_fmac_f16_e32 v0, 0xb70e, v3
	v_fma_f16 v13, v14, 0x39e0, -v13
	v_mul_f16_e32 v14, 0x3846, v15
	v_mul_f16_e32 v15, 0x3b00, v7
	v_add_f16_e32 v12, v12, v1
	v_add_f16_e32 v9, v9, v1
	;; [unrolled: 1-line block ×3, first 2 shown]
	v_fma_f16 v7, v7, 0xbb00, -v14
	v_fmac_f16_e32 v15, 0x3574, v2
	v_fmamk_f16 v2, v2, 0xb574, v14
	v_sub_f16_e32 v13, v10, v5
	v_add_f16_e32 v5, v5, v10
	v_fmac_f16_e32 v7, 0xb70e, v8
	v_fmac_f16_e32 v18, 0xb70e, v3
	;; [unrolled: 1-line block ×4, first 2 shown]
	v_lshrrev_b32_e32 v14, 16, v97
	v_sub_f16_e32 v10, v1, v7
	v_add_f16_e32 v1, v7, v1
	v_add_f16_e32 v7, v2, v9
	;; [unrolled: 1-line block ×3, first 2 shown]
	v_sub_f16_e32 v2, v9, v2
	v_pack_b32_f16 v3, v5, v10
	v_sub_f16_e32 v5, v6, v0
	v_pack_b32_f16 v1, v13, v1
	v_add_f16_e32 v0, v6, v0
	v_lshrrev_b32_e32 v6, 16, v96
	s_delay_alu instid0(VALU_DEP_4) | instskip(SKIP_1) | instid1(VALU_DEP_4)
	v_pack_b32_f16 v5, v5, v7
	v_sub_f16_e32 v7, v4, v18
	v_pack_b32_f16 v0, v0, v2
	v_or_b32_e32 v2, v11, v17
	v_lshrrev_b32_e32 v17, 16, v36
	s_delay_alu instid0(VALU_DEP_4)
	v_pack_b32_f16 v7, v7, v8
	ds_store_2addr_b32 v102, v1, v3 offset0:3 offset1:4
	ds_store_2addr_b32 v102, v7, v5 offset0:5 offset1:6
	v_add_f16_e32 v1, v18, v4
	v_sub_f16_e32 v3, v12, v15
	v_lshrrev_b32_e32 v4, 16, v95
	s_delay_alu instid0(VALU_DEP_2)
	v_pack_b32_f16 v1, v1, v3
	ds_store_2addr_b32 v102, v0, v1 offset0:1 offset1:2
	ds_store_b32 v102, v2
	s_waitcnt lgkmcnt(0)
	s_barrier
	buffer_gl0_inv
	ds_load_2addr_b32 v[81:82], v253 offset0:38 offset1:87
	v_lshrrev_b32_e32 v2, 16, v94
	s_waitcnt lgkmcnt(0)
	v_lshrrev_b32_e32 v0, 16, v82
	s_delay_alu instid0(VALU_DEP_2) | instskip(NEXT) | instid1(VALU_DEP_2)
	v_mul_f16_e32 v1, v2, v82
	v_mul_f16_e32 v7, v2, v0
	s_delay_alu instid0(VALU_DEP_2)
	v_fma_f16 v8, v94, v0, -v1
	ds_load_2addr_b32 v[0:1], v181 offset0:174 offset1:223
	v_fmac_f16_e32 v7, v94, v82
	s_waitcnt lgkmcnt(0)
	v_lshrrev_b32_e32 v2, 16, v0
	v_mul_f16_e32 v3, v4, v0
	s_delay_alu instid0(VALU_DEP_2)
	v_mul_f16_e32 v9, v4, v2
	ds_load_2addr_b32 v[4:5], v159 offset0:84 offset1:133
	v_fma_f16 v10, v95, v2, -v3
	v_fmac_f16_e32 v9, v95, v0
	v_lshrrev_b32_e32 v0, 16, v37
	s_waitcnt lgkmcnt(0)
	v_lshrrev_b32_e32 v2, 16, v5
	v_mul_f16_e32 v3, v6, v5
	s_delay_alu instid0(VALU_DEP_2) | instskip(NEXT) | instid1(VALU_DEP_2)
	v_mul_f16_e32 v11, v6, v2
	v_fma_f16 v12, v96, v2, -v3
	ds_load_2addr_b32 v[2:3], v222 offset0:92 offset1:141
	v_fmac_f16_e32 v11, v96, v5
	v_mul_f16_e32 v5, v0, v1
	s_waitcnt lgkmcnt(0)
	v_lshrrev_b32_e32 v6, 16, v2
	v_mul_f16_e32 v13, v14, v2
	s_delay_alu instid0(VALU_DEP_2) | instskip(NEXT) | instid1(VALU_DEP_2)
	v_mul_f16_e32 v14, v14, v6
	v_fma_f16 v13, v97, v6, -v13
	v_lshrrev_b32_e32 v6, 16, v3
	s_delay_alu instid0(VALU_DEP_3) | instskip(SKIP_1) | instid1(VALU_DEP_1)
	v_fmac_f16_e32 v14, v97, v2
	v_lshrrev_b32_e32 v2, 16, v1
	v_mul_f16_e64 v140, v0, v2
	v_lshrrev_b32_e32 v0, 16, v39
	v_fma_f16 v142, v37, v2, -v5
	s_delay_alu instid0(VALU_DEP_3) | instskip(NEXT) | instid1(VALU_DEP_3)
	v_fmac_f16_e64 v140, v37, v1
	v_mul_f16_e64 v141, v0, v6
	v_mul_f16_e32 v15, v0, v3
	ds_load_2addr_b32 v[0:1], v253 offset0:136 offset1:185
	v_fmac_f16_e64 v141, v39, v3
	v_fma_f16 v145, v39, v6, -v15
	v_lshrrev_b32_e32 v15, 16, v33
	s_waitcnt lgkmcnt(0)
	v_lshrrev_b32_e32 v3, 16, v0
	v_mul_f16_e32 v16, v17, v0
	s_delay_alu instid0(VALU_DEP_2) | instskip(NEXT) | instid1(VALU_DEP_2)
	v_mul_f16_e64 v147, v17, v3
	v_fma_f16 v146, v36, v3, -v16
	ds_load_2addr_b32 v[2:3], v207 offset0:54 offset1:103
	v_lshrrev_b32_e32 v17, 16, v38
	v_fmac_f16_e64 v147, v36, v0
	v_lshrrev_b32_e32 v0, 16, v1
	s_waitcnt lgkmcnt(0)
	v_lshrrev_b32_e32 v5, 16, v2
	v_mul_f16_e32 v16, v17, v2
	s_delay_alu instid0(VALU_DEP_2) | instskip(NEXT) | instid1(VALU_DEP_2)
	v_mul_f16_e64 v144, v17, v5
	v_fma_f16 v143, v38, v5, -v16
	v_lshrrev_b32_e32 v5, 16, v34
	v_lshrrev_b32_e32 v17, 16, v28
	s_delay_alu instid0(VALU_DEP_4) | instskip(SKIP_1) | instid1(VALU_DEP_1)
	v_fmac_f16_e64 v144, v38, v2
	v_lshrrev_b32_e32 v2, 16, v32
	v_mul_f16_e64 v132, v2, v0
	s_delay_alu instid0(VALU_DEP_1) | instskip(SKIP_2) | instid1(VALU_DEP_2)
	v_fmac_f16_e64 v132, v32, v1
	v_mul_f16_e32 v1, v2, v1
	v_lshrrev_b32_e32 v2, 16, v3
	v_fma_f16 v135, v32, v0, -v1
	s_delay_alu instid0(VALU_DEP_2) | instskip(SKIP_3) | instid1(VALU_DEP_1)
	v_mul_f16_e64 v133, v5, v2
	ds_load_2addr_b32 v[0:1], v196 offset0:16 offset1:65
	v_fmac_f16_e64 v133, v34, v3
	v_mul_f16_e32 v3, v5, v3
	v_fma_f16 v134, v34, v2, -v3
	ds_load_2addr_b32 v[2:3], v222 offset0:190 offset1:239
	s_waitcnt lgkmcnt(1)
	v_lshrrev_b32_e32 v5, 16, v0
	v_mul_f16_e32 v6, v15, v0
	s_delay_alu instid0(VALU_DEP_2) | instskip(NEXT) | instid1(VALU_DEP_2)
	v_mul_f16_e64 v137, v15, v5
	v_fma_f16 v136, v33, v5, -v6
	v_lshrrev_b32_e32 v15, 16, v35
	s_delay_alu instid0(VALU_DEP_3) | instskip(SKIP_2) | instid1(VALU_DEP_3)
	v_fmac_f16_e64 v137, v33, v0
	s_waitcnt lgkmcnt(0)
	v_lshrrev_b32_e32 v5, 16, v2
	v_mul_f16_e32 v6, v15, v2
	v_lshrrev_b32_e32 v0, 16, v29
	s_delay_alu instid0(VALU_DEP_3) | instskip(NEXT) | instid1(VALU_DEP_3)
	v_mul_f16_e64 v139, v15, v5
	v_fma_f16 v138, v35, v5, -v6
	s_delay_alu instid0(VALU_DEP_3) | instskip(SKIP_1) | instid1(VALU_DEP_4)
	v_mul_f16_e32 v5, v0, v1
	v_lshrrev_b32_e32 v6, 16, v3
	v_fmac_f16_e64 v139, v35, v2
	v_lshrrev_b32_e32 v2, 16, v1
	v_lshrrev_b32_e32 v35, 16, v156
	s_delay_alu instid0(VALU_DEP_2) | instskip(SKIP_2) | instid1(VALU_DEP_3)
	v_mul_f16_e32 v124, v0, v2
	v_lshrrev_b32_e32 v0, 16, v31
	v_fma_f16 v126, v29, v2, -v5
	v_fmac_f16_e32 v124, v29, v1
	s_delay_alu instid0(VALU_DEP_3)
	v_mul_f16_e32 v125, v0, v6
	v_mul_f16_e32 v15, v0, v3
	ds_load_2addr_b32 v[0:1], v238 offset0:106 offset1:155
	v_fmac_f16_e32 v125, v31, v3
	v_fma_f16 v129, v31, v6, -v15
	v_lshrrev_b32_e32 v15, 16, v25
	s_waitcnt lgkmcnt(0)
	v_lshrrev_b32_e32 v3, 16, v0
	v_mul_f16_e32 v16, v17, v0
	s_delay_alu instid0(VALU_DEP_2) | instskip(NEXT) | instid1(VALU_DEP_2)
	v_mul_f16_e64 v131, v17, v3
	v_fma_f16 v130, v28, v3, -v16
	ds_load_2addr_b32 v[2:3], v207 offset0:152 offset1:201
	v_lshrrev_b32_e32 v17, 16, v30
	v_fmac_f16_e64 v131, v28, v0
	v_lshrrev_b32_e32 v0, 16, v1
	s_waitcnt lgkmcnt(0)
	v_lshrrev_b32_e32 v5, 16, v2
	v_mul_f16_e32 v16, v17, v2
	s_delay_alu instid0(VALU_DEP_2) | instskip(NEXT) | instid1(VALU_DEP_2)
	v_mul_f16_e64 v128, v17, v5
	v_fma_f16 v127, v30, v5, -v16
	v_lshrrev_b32_e32 v5, 16, v26
	v_lshrrev_b32_e32 v17, 16, v20
	s_delay_alu instid0(VALU_DEP_4) | instskip(SKIP_1) | instid1(VALU_DEP_1)
	v_fmac_f16_e64 v128, v30, v2
	v_lshrrev_b32_e32 v2, 16, v24
	v_mul_f16_e32 v32, v2, v0
	s_delay_alu instid0(VALU_DEP_1) | instskip(SKIP_2) | instid1(VALU_DEP_2)
	v_fmac_f16_e32 v32, v24, v1
	v_mul_f16_e32 v1, v2, v1
	v_lshrrev_b32_e32 v2, 16, v3
	v_fma_f16 v37, v24, v0, -v1
	s_delay_alu instid0(VALU_DEP_2) | instskip(SKIP_3) | instid1(VALU_DEP_1)
	v_mul_f16_e32 v33, v5, v2
	ds_load_2addr_b32 v[0:1], v196 offset0:114 offset1:163
	v_fmac_f16_e32 v33, v26, v3
	v_mul_f16_e32 v3, v5, v3
	v_fma_f16 v36, v26, v2, -v3
	ds_load_2addr_b32 v[2:3], v195 offset0:32 offset1:81
	s_waitcnt lgkmcnt(1)
	v_lshrrev_b32_e32 v5, 16, v0
	v_mul_f16_e32 v6, v15, v0
	s_delay_alu instid0(VALU_DEP_2) | instskip(NEXT) | instid1(VALU_DEP_2)
	v_mul_f16_e32 v39, v15, v5
	v_fma_f16 v38, v25, v5, -v6
	v_lshrrev_b32_e32 v15, 16, v27
	s_delay_alu instid0(VALU_DEP_3) | instskip(SKIP_2) | instid1(VALU_DEP_3)
	v_fmac_f16_e32 v39, v25, v0
	s_waitcnt lgkmcnt(0)
	v_lshrrev_b32_e32 v5, 16, v2
	v_mul_f16_e32 v6, v15, v2
	v_lshrrev_b32_e32 v0, 16, v21
	s_delay_alu instid0(VALU_DEP_3) | instskip(NEXT) | instid1(VALU_DEP_3)
	v_mul_f16_e32 v123, v15, v5
	v_fma_f16 v82, v27, v5, -v6
	s_delay_alu instid0(VALU_DEP_3) | instskip(SKIP_1) | instid1(VALU_DEP_4)
	v_mul_f16_e32 v5, v0, v1
	v_lshrrev_b32_e32 v15, 16, v3
	v_fmac_f16_e32 v123, v27, v2
	v_lshrrev_b32_e32 v2, 16, v1
	s_delay_alu instid0(VALU_DEP_1) | instskip(SKIP_2) | instid1(VALU_DEP_3)
	v_mul_f16_e32 v24, v0, v2
	v_lshrrev_b32_e32 v0, 16, v23
	v_fma_f16 v26, v21, v2, -v5
	v_fmac_f16_e32 v24, v21, v1
	s_delay_alu instid0(VALU_DEP_3) | instskip(NEXT) | instid1(VALU_DEP_1)
	v_mul_f16_e32 v25, v0, v15
	v_fmac_f16_e32 v25, v23, v3
	v_mul_f16_e32 v3, v0, v3
	ds_load_2addr_b32 v[0:1], v181 offset0:76 offset1:125
	v_fma_f16 v23, v23, v15, -v3
	s_waitcnt lgkmcnt(0)
	v_lshrrev_b32_e32 v6, 16, v0
	v_mul_f16_e32 v16, v17, v0
	s_delay_alu instid0(VALU_DEP_2) | instskip(NEXT) | instid1(VALU_DEP_2)
	v_mul_f16_e32 v30, v17, v6
	v_fma_f16 v29, v20, v6, -v16
	ds_load_2addr_b32 v[5:6], v98 offset0:122 offset1:171
	v_lshrrev_b32_e32 v17, 16, v22
	v_fmac_f16_e32 v30, v20, v0
	v_lshrrev_b32_e32 v0, 16, v1
	s_waitcnt lgkmcnt(0)
	v_lshrrev_b32_e32 v2, 16, v5
	v_mul_f16_e32 v16, v17, v5
	v_lshrrev_b32_e32 v15, 16, v6
	s_delay_alu instid0(VALU_DEP_3) | instskip(NEXT) | instid1(VALU_DEP_3)
	v_mul_f16_e32 v28, v17, v2
	v_fma_f16 v27, v22, v2, -v16
	v_mul_f16_e64 v2, v226, v0
	s_delay_alu instid0(VALU_DEP_4)
	v_mul_f16_e64 v20, v252, v15
	v_mul_f16_e64 v16, v252, v6
	v_fmac_f16_e32 v28, v22, v5
	v_lshrrev_b32_e32 v5, 16, v4
	v_fmac_f16_e32 v2, v83, v1
	v_mul_f16_e64 v1, v226, v1
	v_fmac_f16_e32 v20, v85, v6
	v_lshrrev_b32_e32 v6, 16, v86
	v_mul_f16_e64 v3, v246, v5
	v_fma_f16 v16, v85, v15, -v16
	v_fma_f16 v21, v83, v0, -v1
	ds_load_2addr_b32 v[0:1], v195 offset0:130 offset1:179
	v_fmac_f16_e32 v3, v84, v4
	v_mul_f16_e64 v4, v246, v4
	s_delay_alu instid0(VALU_DEP_1) | instskip(SKIP_3) | instid1(VALU_DEP_2)
	v_fma_f16 v17, v84, v5, -v4
	s_waitcnt lgkmcnt(0)
	v_lshrrev_b32_e32 v4, 16, v0
	v_mul_f16_e32 v5, v6, v0
	v_mul_f16_e32 v22, v6, v4
	s_delay_alu instid0(VALU_DEP_2) | instskip(SKIP_1) | instid1(VALU_DEP_3)
	v_fma_f16 v18, v86, v4, -v5
	v_lshrrev_b32_e32 v5, 16, v236
	v_fmac_f16_e32 v22, v86, v0
	v_lshrrev_b32_e32 v0, 16, v1
	s_delay_alu instid0(VALU_DEP_1) | instskip(SKIP_1) | instid1(VALU_DEP_2)
	v_mul_f16_e32 v4, v5, v0
	v_mul_f16_e32 v5, v5, v1
	v_fmac_f16_e64 v4, v236, v1
	s_delay_alu instid0(VALU_DEP_2)
	v_fma_f16 v5, v236, v0, -v5
	ds_load_2addr_b32 v[0:1], v186 offset0:10 offset1:59
	v_add_f16_e32 v93, v9, v4
	v_sub_f16_e32 v96, v9, v4
	v_add_f16_e64 v226, v10, v5
	v_add_f16_e32 v4, v11, v14
	v_sub_f16_e64 v219, v10, v5
	v_sub_f16_e32 v5, v14, v11
	s_delay_alu instid0(VALU_DEP_3) | instskip(NEXT) | instid1(VALU_DEP_1)
	v_sub_f16_e64 v236, v4, v93
	v_mul_f16_e64 v14, 0x2b26, v236
	s_waitcnt lgkmcnt(0)
	v_lshrrev_b32_e32 v6, 16, v0
	v_mul_f16_e32 v15, v19, v0
	s_delay_alu instid0(VALU_DEP_2) | instskip(NEXT) | instid1(VALU_DEP_2)
	v_mul_f16_e32 v85, v19, v6
	v_fma_f16 v6, v237, v6, -v15
	v_lshrrev_b32_e32 v15, 16, v1
	s_delay_alu instid0(VALU_DEP_3) | instskip(SKIP_1) | instid1(VALU_DEP_4)
	v_fmac_f16_e64 v85, v237, v0
	v_lshrrev_b32_e32 v0, 16, v157
	v_add_f16_e32 v92, v8, v6
	v_sub_f16_e32 v91, v8, v6
	v_add_f16_e32 v6, v12, v13
	v_add_f16_e32 v80, v7, v85
	v_mul_f16_e64 v189, v0, v15
	v_mul_f16_e32 v19, v0, v1
	v_sub_f16_e32 v87, v7, v85
	v_sub_f16_e32 v7, v13, v12
	;; [unrolled: 1-line block ×3, first 2 shown]
	v_fmac_f16_e64 v189, v157, v1
	ds_load_2addr_b32 v[0:1], v250 offset0:100 offset1:149
	v_fma_f16 v210, v157, v15, -v19
	v_lshrrev_b32_e32 v15, 16, v161
	v_sub_f16_e64 v13, v7, v219
	v_sub_f16_e64 v233, v6, v226
	v_sub_f16_e32 v89, v87, v5
	v_sub_f16_e32 v90, v91, v7
	v_mul_f16_e64 v246, 0x3846, v12
	v_mul_f16_e64 v237, 0x3846, v13
	v_sub_f16_e32 v12, v96, v87
	v_sub_f16_e64 v13, v219, v91
	s_delay_alu instid0(VALU_DEP_3) | instskip(SKIP_3) | instid1(VALU_DEP_2)
	v_fma_f16 v232, 0xb574, v90, v237
	s_waitcnt lgkmcnt(0)
	v_lshrrev_b32_e32 v31, 16, v0
	v_mul_f16_e32 v34, v35, v0
	v_mul_f16_e64 v201, v35, v31
	s_delay_alu instid0(VALU_DEP_2) | instskip(SKIP_2) | instid1(VALU_DEP_4)
	v_fma_f16 v197, v156, v31, -v34
	v_lshrrev_b32_e32 v31, 16, v162
	v_lshrrev_b32_e32 v35, 16, v168
	v_fmac_f16_e64 v201, v156, v0
	v_lshrrev_b32_e32 v0, 16, v1
	s_delay_alu instid0(VALU_DEP_1) | instskip(SKIP_1) | instid1(VALU_DEP_2)
	v_mul_f16_e64 v150, v15, v0
	v_mul_f16_e32 v15, v15, v1
	v_fmac_f16_e64 v150, v161, v1
	s_delay_alu instid0(VALU_DEP_2)
	v_fma_f16 v151, v161, v0, -v15
	ds_load_2addr_b32 v[0:1], v186 offset0:108 offset1:157
	v_mov_b32_e32 v161, v158
	s_waitcnt lgkmcnt(0)
	v_lshrrev_b32_e32 v15, 16, v0
	v_mul_f16_e32 v19, v31, v0
	s_delay_alu instid0(VALU_DEP_2) | instskip(NEXT) | instid1(VALU_DEP_2)
	v_mul_f16_e64 v188, v31, v15
	v_fma_f16 v156, v162, v15, -v19
	v_lshrrev_b32_e32 v15, 16, v1
	s_delay_alu instid0(VALU_DEP_3) | instskip(SKIP_2) | instid1(VALU_DEP_2)
	v_fmac_f16_e64 v188, v162, v0
	v_lshrrev_b32_e32 v0, 16, v169
	v_mov_b32_e32 v162, v159
	v_mul_f16_e32 v101, v0, v15
	v_mul_f16_e32 v19, v0, v1
	s_delay_alu instid0(VALU_DEP_2)
	v_fmac_f16_e64 v101, v169, v1
	ds_load_2addr_b32 v[0:1], v176 offset0:70 offset1:119
	v_fma_f16 v149, v169, v15, -v19
	v_lshrrev_b32_e32 v15, 16, v170
	s_waitcnt lgkmcnt(0)
	v_lshrrev_b32_e32 v31, 16, v0
	v_mul_f16_e32 v34, v35, v0
	s_delay_alu instid0(VALU_DEP_2) | instskip(NEXT) | instid1(VALU_DEP_2)
	v_mul_f16_e64 v148, v35, v31
	v_fma_f16 v102, v168, v31, -v34
	v_lshrrev_b32_e32 v31, 16, v171
	v_lshrrev_b32_e32 v35, 16, v173
	s_delay_alu instid0(VALU_DEP_4) | instskip(SKIP_1) | instid1(VALU_DEP_1)
	v_fmac_f16_e64 v148, v168, v0
	v_lshrrev_b32_e32 v0, 16, v1
	v_mul_f16_e32 v97, v15, v0
	v_mul_f16_e32 v15, v15, v1
	s_delay_alu instid0(VALU_DEP_2) | instskip(NEXT) | instid1(VALU_DEP_2)
	v_fmac_f16_e64 v97, v170, v1
	v_fma_f16 v98, v170, v0, -v15
	ds_load_2addr_b32 v[0:1], v186 offset0:206 offset1:255
	s_waitcnt lgkmcnt(0)
	v_lshrrev_b32_e32 v15, 16, v0
	v_mul_f16_e32 v19, v31, v0
	s_delay_alu instid0(VALU_DEP_2) | instskip(NEXT) | instid1(VALU_DEP_2)
	v_mul_f16_e32 v100, v31, v15
	v_fma_f16 v99, v171, v15, -v19
	v_lshrrev_b32_e32 v15, 16, v1
	s_delay_alu instid0(VALU_DEP_3) | instskip(SKIP_1) | instid1(VALU_DEP_1)
	v_fmac_f16_e64 v100, v171, v0
	v_lshrrev_b32_e32 v0, 16, v174
	v_mul_f16_e32 v83, v0, v15
	v_mul_f16_e32 v19, v0, v1
	s_delay_alu instid0(VALU_DEP_2)
	v_fmac_f16_e64 v83, v174, v1
	ds_load_2addr_b32 v[0:1], v176 offset0:168 offset1:217
	v_fma_f16 v94, v174, v15, -v19
	v_lshrrev_b32_e32 v15, 16, v244
	s_waitcnt lgkmcnt(0)
	v_lshrrev_b32_e32 v31, 16, v0
	v_mul_f16_e32 v34, v35, v0
	s_delay_alu instid0(VALU_DEP_2) | instskip(NEXT) | instid1(VALU_DEP_2)
	v_mul_f16_e32 v95, v35, v31
	v_fma_f16 v84, v173, v31, -v34
	s_delay_alu instid0(VALU_DEP_2) | instskip(SKIP_1) | instid1(VALU_DEP_1)
	v_fmac_f16_e64 v95, v173, v0
	v_lshrrev_b32_e32 v0, 16, v1
	v_mul_f16_e32 v19, v15, v0
	v_mul_f16_e32 v15, v15, v1
	s_delay_alu instid0(VALU_DEP_2) | instskip(NEXT) | instid1(VALU_DEP_2)
	v_fmac_f16_e64 v19, v244, v1
	v_fma_f16 v31, v244, v0, -v15
	ds_load_b32 v0, v251 offset:9408
	v_lshrrev_b32_e32 v15, 16, v245
	v_fma_f16 v244, 0xb574, v89, v246
	s_waitcnt lgkmcnt(0)
	v_lshrrev_b32_e32 v1, 16, v0
	s_delay_alu instid0(VALU_DEP_1) | instskip(SKIP_1) | instid1(VALU_DEP_2)
	v_mul_f16_e32 v34, v15, v1
	v_mul_f16_e32 v15, v15, v0
	v_fmac_f16_e64 v34, v245, v0
	v_add_f16_e32 v0, v93, v80
	s_delay_alu instid0(VALU_DEP_3) | instskip(SKIP_1) | instid1(VALU_DEP_3)
	v_fma_f16 v35, v245, v1, -v15
	v_mul_f16_e64 v15, 0x2b26, v233
	v_add_f16_e32 v8, v4, v0
	v_add_f16_e64 v0, v226, v92
	s_delay_alu instid0(VALU_DEP_1) | instskip(SKIP_4) | instid1(VALU_DEP_2)
	v_add_f16_e32 v9, v6, v0
	ds_load_2addr_b32 v[0:1], v251 offset1:49
	s_waitcnt lgkmcnt(0)
	v_lshrrev_b32_e32 v10, 16, v0
	v_add_f16_e32 v0, v8, v0
	v_add_f16_e32 v85, v9, v10
	s_delay_alu instid0(VALU_DEP_2)
	v_and_b32_e32 v11, 0xffff, v0
	v_fmac_f16_e32 v0, 0xbcab, v8
	v_sub_f16_e32 v8, v80, v4
	v_sub_f16_e32 v4, v92, v6
	v_lshlrev_b32_e32 v10, 16, v85
	v_add_f16_e32 v6, v5, v96
	v_add_f16_e64 v5, v7, v219
	v_mul_f16_e64 v255, 0x3a52, v8
	v_mul_f16_e64 v245, 0x3a52, v4
	v_or_b32_e32 v11, v10, v11
	v_fmac_f16_e32 v85, 0xbcab, v9
	v_add_f16_e32 v9, v6, v87
	v_fma_f16 v4, 0x2b26, v236, v255
	v_add_f16_e32 v10, v5, v91
	v_fma_f16 v87, v13, 0xbb00, -v237
	v_mul_f16_e32 v13, 0x3b00, v13
	v_fmac_f16_e64 v244, 0xb70e, v9
	v_add_f16_e32 v86, v4, v0
	v_fma_f16 v4, 0x2b26, v233, v245
	v_fmac_f16_e64 v232, 0xb70e, v10
	v_fmac_f16_e32 v13, 0x3574, v90
	v_fmac_f16_e32 v87, 0xb70e, v10
	s_delay_alu instid0(VALU_DEP_4) | instskip(NEXT) | instid1(VALU_DEP_4)
	v_add_f16_e32 v88, v4, v85
	v_add_f16_e64 v8, v232, v86
	ds_load_2addr_b32 v[4:5], v251 offset0:98 offset1:147
	ds_load_2addr_b32 v[6:7], v251 offset0:196 offset1:245
	s_waitcnt lgkmcnt(0)
	s_barrier
	v_sub_f16_e64 v252, v88, v244
	buffer_gl0_inv
	v_fmac_f16_e32 v13, 0xb70e, v10
	v_pack_b32_f16 v8, v8, v252
	ds_store_2addr_b32 v205, v11, v8 offset1:7
	v_sub_f16_e32 v8, v93, v80
	v_sub_f16_e64 v11, v226, v92
	v_fma_f16 v80, v12, 0xbb00, -v246
	v_mul_f16_e32 v12, 0x3b00, v12
	s_delay_alu instid0(VALU_DEP_4)
	v_fma_f16 v14, v8, 0x39e0, -v14
	v_fma_f16 v8, v8, 0xb9e0, -v255
	;; [unrolled: 1-line block ×4, first 2 shown]
	v_fmac_f16_e32 v12, 0x3574, v89
	v_add_f16_e32 v14, v14, v0
	v_add_f16_e32 v0, v8, v0
	;; [unrolled: 1-line block ×4, first 2 shown]
	v_fmac_f16_e32 v12, 0xb70e, v9
	v_fmac_f16_e32 v80, 0xb70e, v9
	v_add_f16_e32 v9, v13, v0
	v_sub_f16_e32 v0, v0, v13
	v_add_f16_e64 v13, v142, v197
	v_sub_f16_e32 v10, v11, v12
	v_add_f16_e32 v15, v80, v8
	v_sub_f16_e32 v8, v8, v80
	v_add_f16_e64 v85, v143, v145
	v_sub_f16_e64 v80, v141, v144
	v_pack_b32_f16 v9, v9, v10
	v_sub_f16_e32 v10, v14, v87
	s_delay_alu instid0(VALU_DEP_1)
	v_pack_b32_f16 v10, v10, v15
	v_add_f16_e64 v15, v144, v141
	ds_store_2addr_b32 v205, v9, v10 offset0:14 offset1:21
	v_add_f16_e32 v9, v87, v14
	v_add_f16_e32 v10, v12, v11
	v_add_f16_e64 v11, v140, v201
	v_sub_f16_e64 v12, v140, v201
	v_sub_f16_e64 v14, v142, v197
	v_pack_b32_f16 v8, v9, v8
	v_pack_b32_f16 v0, v0, v10
	v_add_f16_e64 v9, v146, v210
	v_sub_f16_e64 v10, v146, v210
	v_sub_f16_e32 v92, v80, v12
	ds_store_2addr_b32 v205, v8, v0 offset0:28 offset1:35
	v_sub_f16_e64 v0, v86, v232
	v_add_f16_e64 v8, v244, v88
	v_add_f16_e32 v89, v13, v9
	v_lshrrev_b32_e32 v88, 16, v1
	v_sub_f16_e64 v86, v145, v143
	v_mul_f16_e32 v92, 0x3846, v92
	v_pack_b32_f16 v0, v0, v8
	v_add_f16_e32 v89, v85, v89
	v_sub_f16_e64 v8, v147, v189
	v_add_f16_e32 v93, v86, v14
	v_sub_f16_e32 v96, v86, v14
	ds_store_b32 v205, v0 offset:168
	v_add_f16_e64 v0, v147, v189
	v_add_f16_e32 v88, v89, v88
	v_sub_f16_e32 v86, v10, v86
	v_add_f16_e32 v93, v93, v10
	v_mul_f16_e32 v96, 0x3846, v96
	v_add_f16_e32 v87, v11, v0
	v_lshlrev_b32_e32 v90, 16, v88
	v_fmac_f16_e32 v88, 0xbcab, v89
	v_sub_f16_e32 v89, v9, v85
	v_sub_f16_e32 v85, v85, v13
	v_add_f16_e32 v87, v15, v87
	v_sub_f16_e32 v10, v14, v10
	v_sub_f16_e32 v9, v13, v9
	v_mul_f16_e32 v89, 0x3a52, v89
	v_fma_f16 v142, 0xb574, v86, v96
	v_add_f16_e32 v1, v87, v1
	v_fma_f16 v14, v10, 0xbb00, -v96
	v_mul_f16_e32 v10, 0x3b00, v10
	v_fma_f16 v141, 0x2b26, v85, v89
	v_fmac_f16_e64 v142, 0xb70e, v93
	v_and_b32_e32 v91, 0xffff, v1
	v_fmac_f16_e32 v1, 0xbcab, v87
	v_sub_f16_e32 v87, v0, v15
	v_sub_f16_e32 v15, v15, v11
	v_sub_f16_e32 v0, v11, v0
	v_or_b32_e32 v90, v90, v91
	v_add_f16_e32 v91, v80, v12
	v_sub_f16_e32 v80, v8, v80
	v_mul_f16_e32 v87, 0x3a52, v87
	v_mul_f16_e32 v11, 0x2b26, v15
	v_fmac_f16_e32 v10, 0x3574, v86
	v_add_f16_e32 v91, v91, v8
	v_sub_f16_e32 v8, v12, v8
	v_mul_f16_e32 v12, 0x2b26, v85
	v_fma_f16 v11, v0, 0x39e0, -v11
	v_fma_f16 v0, v0, 0xb9e0, -v87
	v_fma_f16 v140, 0x2b26, v15, v87
	v_fma_f16 v13, v8, 0xbb00, -v92
	v_mul_f16_e32 v8, 0x3b00, v8
	v_fma_f16 v12, v9, 0x39e0, -v12
	v_fma_f16 v9, v9, 0xb9e0, -v89
	v_add_f16_e32 v0, v0, v1
	v_fmac_f16_e32 v10, 0xb70e, v93
	v_fmac_f16_e32 v8, 0x3574, v80
	v_add_f16_e64 v140, v140, v1
	v_add_f16_e32 v9, v9, v88
	v_add_f16_e32 v11, v11, v1
	;; [unrolled: 1-line block ×3, first 2 shown]
	v_fmac_f16_e32 v8, 0xb70e, v91
	v_fmac_f16_e32 v13, 0xb70e, v91
	;; [unrolled: 1-line block ×3, first 2 shown]
	v_add_f16_e32 v12, v10, v0
	v_fma_f16 v143, 0xb574, v80, v92
	v_sub_f16_e32 v15, v9, v8
	v_add_f16_e32 v80, v13, v1
	v_sub_f16_e32 v1, v1, v13
	v_sub_f16_e32 v0, v0, v10
	v_add_f16_e32 v8, v8, v9
	v_pack_b32_f16 v12, v12, v15
	v_sub_f16_e32 v15, v11, v14
	v_add_f16_e32 v11, v14, v11
	v_add_f16_e64 v141, v141, v88
	v_fmac_f16_e64 v143, 0xb70e, v91
	v_pack_b32_f16 v0, v0, v8
	v_pack_b32_f16 v15, v15, v80
	;; [unrolled: 1-line block ×3, first 2 shown]
	v_add_f16_e64 v8, v135, v156
	v_add_f16_e64 v10, v137, v150
	;; [unrolled: 1-line block ×3, first 2 shown]
	ds_store_2addr_b32 v228, v12, v15 offset0:14 offset1:21
	ds_store_2addr_b32 v228, v1, v0 offset0:28 offset1:35
	v_sub_f16_e64 v0, v140, v142
	v_add_f16_e64 v1, v143, v141
	v_add_f16_e64 v12, v136, v151
	;; [unrolled: 1-line block ×4, first 2 shown]
	v_sub_f16_e64 v145, v141, v143
	v_pack_b32_f16 v0, v0, v1
	v_add_f16_e32 v87, v12, v8
	v_lshrrev_b32_e32 v88, 16, v4
	v_sub_f16_e64 v11, v137, v150
	v_pack_b32_f16 v144, v144, v145
	ds_store_b32 v228, v0 offset:168
	v_add_f16_e64 v0, v132, v188
	v_add_f16_e32 v87, v80, v87
	v_sub_f16_e64 v13, v136, v151
	ds_store_2addr_b32 v228, v90, v144 offset1:7
	v_sub_f16_e64 v15, v139, v133
	v_add_f16_e32 v86, v10, v0
	v_add_f16_e32 v88, v87, v88
	v_sub_f16_e64 v85, v138, v134
	v_sub_f16_e64 v1, v132, v188
	;; [unrolled: 1-line block ×3, first 2 shown]
	v_add_f16_e32 v86, v14, v86
	v_lshlrev_b32_e32 v89, 16, v88
	v_sub_f16_e32 v91, v15, v11
	v_add_f16_e32 v92, v85, v13
	v_sub_f16_e32 v93, v85, v13
	v_add_f16_e32 v4, v86, v4
	v_fmac_f16_e32 v88, 0xbcab, v87
	v_sub_f16_e32 v87, v8, v80
	v_sub_f16_e32 v80, v80, v12
	;; [unrolled: 1-line block ×3, first 2 shown]
	v_and_b32_e32 v90, 0xffff, v4
	v_fmac_f16_e32 v4, 0xbcab, v86
	v_sub_f16_e32 v86, v0, v14
	v_sub_f16_e32 v14, v14, v10
	v_add_f16_e32 v92, v92, v9
	v_or_b32_e32 v89, v89, v90
	v_add_f16_e32 v90, v15, v11
	v_sub_f16_e32 v15, v1, v15
	v_mul_f16_e32 v91, 0x3846, v91
	v_mul_f16_e32 v93, 0x3846, v93
	v_sub_f16_e32 v9, v13, v9
	v_add_f16_e32 v90, v90, v1
	v_sub_f16_e32 v1, v11, v1
	v_mul_f16_e32 v86, 0x3a52, v86
	v_mul_f16_e32 v87, 0x3a52, v87
	v_sub_f16_e32 v0, v10, v0
	v_sub_f16_e32 v8, v12, v8
	v_mul_f16_e32 v10, 0x2b26, v14
	v_mul_f16_e32 v11, 0x2b26, v80
	v_fma_f16 v12, v1, 0xbb00, -v91
	v_mul_f16_e32 v1, 0x3b00, v1
	v_fma_f16 v13, v9, 0xbb00, -v93
	;; [unrolled: 2-line block ×3, first 2 shown]
	v_fma_f16 v0, v0, 0xb9e0, -v86
	v_fma_f16 v11, v8, 0x39e0, -v11
	;; [unrolled: 1-line block ×3, first 2 shown]
	v_fmac_f16_e32 v1, 0x3574, v15
	v_fmac_f16_e32 v9, 0x3574, v85
	v_fmamk_f16 v96, v14, 0x2b26, v86
	v_add_f16_e32 v0, v0, v4
	v_add_f16_e32 v8, v8, v88
	v_fmac_f16_e32 v1, 0xb70e, v90
	v_fmac_f16_e32 v9, 0xb70e, v92
	v_add_f16_e32 v96, v96, v4
	v_add_f16_e32 v10, v10, v4
	v_add_f16_e32 v4, v11, v88
	v_fmac_f16_e32 v12, 0xb70e, v90
	v_fmac_f16_e32 v13, 0xb70e, v92
	v_add_f16_e32 v11, v9, v0
	v_sub_f16_e32 v14, v8, v1
	v_fma_f16 v132, 0x2b26, v80, v87
	v_fma_f16 v133, 0xb574, v85, v93
	;; [unrolled: 1-line block ×3, first 2 shown]
	v_add_f16_e32 v15, v12, v4
	v_pack_b32_f16 v11, v11, v14
	v_sub_f16_e32 v14, v10, v13
	v_add_f16_e32 v10, v13, v10
	v_sub_f16_e32 v4, v4, v12
	v_sub_f16_e32 v0, v0, v9
	v_add_f16_e32 v1, v1, v8
	v_add_f16_e64 v132, v132, v88
	v_fmac_f16_e64 v133, 0xb70e, v92
	v_fmac_f16_e64 v134, 0xb70e, v90
	v_pack_b32_f16 v4, v10, v4
	v_pack_b32_f16 v0, v0, v1
	;; [unrolled: 1-line block ×3, first 2 shown]
	v_add_f16_e64 v9, v124, v148
	v_add_f16_e64 v1, v134, v132
	;; [unrolled: 1-line block ×3, first 2 shown]
	ds_store_2addr_b32 v239, v4, v0 offset0:28 offset1:35
	v_sub_f16_e64 v0, v96, v133
	ds_store_2addr_b32 v239, v11, v14 offset0:14 offset1:21
	v_add_f16_e64 v4, v130, v149
	v_add_f16_e32 v11, v126, v102
	v_add_f16_e64 v15, v127, v129
	v_pack_b32_f16 v0, v0, v1
	v_add_f16_e64 v135, v133, v96
	v_sub_f16_e64 v136, v132, v134
	v_add_f16_e32 v87, v11, v4
	v_lshrrev_b32_e32 v86, 16, v5
	ds_store_b32 v239, v0 offset:168
	v_add_f16_e64 v0, v131, v101
	v_pack_b32_f16 v135, v135, v136
	v_add_f16_e32 v87, v15, v87
	v_sub_f16_e64 v10, v124, v148
	v_sub_f16_e32 v12, v126, v102
	v_add_f16_e32 v85, v9, v0
	ds_store_2addr_b32 v239, v89, v135 offset1:7
	v_add_f16_e32 v86, v87, v86
	v_sub_f16_e64 v14, v125, v128
	v_sub_f16_e64 v80, v129, v127
	v_add_f16_e32 v85, v13, v85
	v_sub_f16_e64 v1, v131, v101
	v_lshlrev_b32_e32 v88, 16, v86
	v_sub_f16_e64 v8, v130, v149
	v_sub_f16_e32 v90, v14, v10
	v_add_f16_e32 v5, v85, v5
	v_add_f16_e32 v91, v80, v12
	v_sub_f16_e32 v92, v80, v12
	v_fmac_f16_e32 v86, 0xbcab, v87
	v_sub_f16_e32 v87, v4, v15
	v_and_b32_e32 v89, 0xffff, v5
	v_fmac_f16_e32 v5, 0xbcab, v85
	v_sub_f16_e32 v85, v0, v13
	v_sub_f16_e32 v13, v13, v9
	;; [unrolled: 1-line block ×3, first 2 shown]
	v_or_b32_e32 v88, v88, v89
	v_add_f16_e32 v89, v14, v10
	v_sub_f16_e32 v14, v1, v14
	v_sub_f16_e32 v80, v8, v80
	v_add_f16_e32 v91, v91, v8
	v_mul_f16_e32 v90, 0x3846, v90
	v_add_f16_e32 v89, v89, v1
	v_mul_f16_e32 v92, 0x3846, v92
	v_sub_f16_e32 v1, v10, v1
	v_sub_f16_e32 v8, v12, v8
	v_mul_f16_e32 v85, 0x3a52, v85
	v_mul_f16_e32 v87, 0x3a52, v87
	v_sub_f16_e32 v0, v9, v0
	v_sub_f16_e32 v4, v11, v4
	v_mul_f16_e32 v9, 0x2b26, v13
	v_mul_f16_e32 v10, 0x2b26, v15
	v_fma_f16 v11, v1, 0xbb00, -v90
	v_mul_f16_e32 v1, 0x3b00, v1
	v_fma_f16 v12, v8, 0xbb00, -v92
	;; [unrolled: 2-line block ×3, first 2 shown]
	v_fma_f16 v0, v0, 0xb9e0, -v85
	v_fma_f16 v10, v4, 0x39e0, -v10
	;; [unrolled: 1-line block ×3, first 2 shown]
	v_fmac_f16_e32 v1, 0x3574, v14
	v_fmac_f16_e32 v8, 0x3574, v80
	v_fmamk_f16 v93, v13, 0x2b26, v85
	v_add_f16_e32 v0, v0, v5
	v_add_f16_e32 v4, v4, v86
	v_fmac_f16_e32 v1, 0xb70e, v89
	v_fmac_f16_e32 v8, 0xb70e, v91
	v_add_f16_e32 v93, v93, v5
	v_add_f16_e32 v9, v9, v5
	;; [unrolled: 1-line block ×3, first 2 shown]
	v_fmac_f16_e32 v11, 0xb70e, v89
	v_fmac_f16_e32 v12, 0xb70e, v91
	v_add_f16_e32 v10, v8, v0
	v_sub_f16_e32 v13, v4, v1
	v_fmamk_f16 v96, v15, 0x2b26, v87
	v_fmamk_f16 v101, v80, 0xb574, v92
	;; [unrolled: 1-line block ×3, first 2 shown]
	v_add_f16_e32 v14, v11, v5
	v_pack_b32_f16 v10, v10, v13
	v_sub_f16_e32 v13, v9, v12
	v_add_f16_e32 v9, v12, v9
	v_sub_f16_e32 v5, v5, v11
	v_sub_f16_e32 v0, v0, v8
	v_add_f16_e32 v1, v1, v4
	v_add_f16_e32 v96, v96, v86
	v_fmac_f16_e32 v101, 0xb70e, v91
	v_fmac_f16_e32 v102, 0xb70e, v89
	v_pack_b32_f16 v4, v9, v5
	v_pack_b32_f16 v0, v0, v1
	;; [unrolled: 1-line block ×3, first 2 shown]
	v_add_f16_e32 v8, v39, v97
	v_add_f16_e32 v1, v102, v96
	;; [unrolled: 1-line block ×3, first 2 shown]
	ds_store_2addr_b32 v254, v4, v0 offset0:28 offset1:35
	v_sub_f16_e32 v0, v93, v101
	ds_store_2addr_b32 v254, v10, v13 offset0:14 offset1:21
	v_add_f16_e32 v4, v37, v99
	v_add_f16_e32 v10, v38, v98
	v_sub_f16_e32 v13, v123, v33
	v_pack_b32_f16 v0, v0, v1
	v_sub_f16_e32 v1, v32, v100
	v_add_f16_e32 v14, v36, v82
	v_add_f16_e32 v33, v10, v4
	v_sub_f16_e32 v15, v82, v36
	ds_store_b32 v254, v0 offset:168
	v_add_f16_e32 v0, v32, v100
	v_lshrrev_b32_e32 v36, 16, v6
	v_add_f16_e32 v33, v14, v33
	v_sub_f16_e32 v5, v37, v99
	v_sub_f16_e32 v9, v39, v97
	v_add_f16_e32 v32, v8, v0
	v_sub_f16_e32 v11, v38, v98
	v_add_f16_e32 v36, v33, v36
	v_add_f16_e32 v124, v101, v93
	v_sub_f16_e32 v39, v13, v9
	v_add_f16_e32 v32, v12, v32
	v_add_f16_e32 v80, v15, v11
	v_lshlrev_b32_e32 v37, 16, v36
	v_sub_f16_e32 v82, v15, v11
	v_fmac_f16_e32 v36, 0xbcab, v33
	v_add_f16_e32 v6, v32, v6
	v_sub_f16_e32 v33, v4, v14
	v_sub_f16_e32 v14, v14, v10
	;; [unrolled: 1-line block ×3, first 2 shown]
	v_add_f16_e32 v80, v80, v5
	v_and_b32_e32 v38, 0xffff, v6
	v_fmac_f16_e32 v6, 0xbcab, v32
	v_sub_f16_e32 v32, v0, v12
	v_sub_f16_e32 v12, v12, v8
	v_mul_f16_e32 v39, 0x3846, v39
	v_or_b32_e32 v37, v37, v38
	v_add_f16_e32 v38, v13, v9
	v_sub_f16_e32 v13, v1, v13
	v_mul_f16_e32 v82, 0x3846, v82
	v_sub_f16_e32 v5, v11, v5
	v_mul_f16_e32 v32, 0x3a52, v32
	v_add_f16_e32 v38, v38, v1
	v_sub_f16_e32 v1, v9, v1
	v_mul_f16_e32 v33, 0x3a52, v33
	v_sub_f16_e32 v0, v8, v0
	v_sub_f16_e32 v4, v10, v4
	v_mul_f16_e32 v8, 0x2b26, v12
	v_mul_f16_e32 v9, 0x2b26, v14
	v_fma_f16 v10, v1, 0xbb00, -v39
	v_mul_f16_e32 v1, 0x3b00, v1
	v_fma_f16 v11, v5, 0xbb00, -v82
	;; [unrolled: 2-line block ×3, first 2 shown]
	v_fma_f16 v0, v0, 0xb9e0, -v32
	v_fma_f16 v9, v4, 0x39e0, -v9
	;; [unrolled: 1-line block ×3, first 2 shown]
	v_fmac_f16_e32 v1, 0x3574, v13
	v_fmac_f16_e32 v5, 0x3574, v15
	v_sub_f16_e32 v125, v96, v102
	v_fmamk_f16 v85, v12, 0x2b26, v32
	v_add_f16_e32 v0, v0, v6
	v_add_f16_e32 v4, v4, v36
	v_fmac_f16_e32 v1, 0xb70e, v38
	v_fmac_f16_e32 v5, 0xb70e, v80
	v_pack_b32_f16 v124, v124, v125
	v_add_f16_e32 v85, v85, v6
	v_add_f16_e32 v8, v8, v6
	;; [unrolled: 1-line block ×3, first 2 shown]
	v_fmac_f16_e32 v10, 0xb70e, v38
	v_fmac_f16_e32 v11, 0xb70e, v80
	v_add_f16_e32 v9, v5, v0
	v_sub_f16_e32 v12, v4, v1
	ds_store_2addr_b32 v254, v88, v124 offset1:7
	v_fmamk_f16 v86, v14, 0x2b26, v33
	v_fmamk_f16 v87, v15, 0xb574, v82
	;; [unrolled: 1-line block ×3, first 2 shown]
	v_pack_b32_f16 v9, v9, v12
	v_sub_f16_e32 v12, v8, v11
	v_add_f16_e32 v13, v10, v6
	v_add_f16_e32 v8, v11, v8
	v_sub_f16_e32 v6, v6, v10
	v_sub_f16_e32 v0, v0, v5
	v_add_f16_e32 v1, v1, v4
	v_add_f16_e32 v86, v86, v36
	v_fmac_f16_e32 v87, 0xb70e, v80
	v_fmac_f16_e32 v88, 0xb70e, v38
	v_pack_b32_f16 v4, v8, v6
	v_pack_b32_f16 v0, v0, v1
	;; [unrolled: 1-line block ×3, first 2 shown]
	v_add_f16_e32 v6, v24, v95
	v_add_f16_e32 v1, v88, v86
	v_sub_f16_e32 v8, v24, v95
	ds_store_2addr_b32 v180, v4, v0 offset0:28 offset1:35
	v_sub_f16_e32 v0, v85, v87
	ds_store_2addr_b32 v180, v9, v12 offset0:14 offset1:21
	v_add_f16_e32 v4, v29, v94
	v_add_f16_e32 v9, v26, v84
	;; [unrolled: 1-line block ×3, first 2 shown]
	v_pack_b32_f16 v0, v0, v1
	v_add_f16_e32 v13, v27, v23
	v_sub_f16_e32 v14, v23, v27
	v_add_f16_e32 v24, v9, v4
	v_lshrrev_b32_e32 v23, 16, v7
	ds_store_b32 v180, v0 offset:168
	v_add_f16_e32 v0, v30, v83
	v_sub_f16_e32 v10, v26, v84
	v_add_f16_e32 v24, v13, v24
	v_sub_f16_e32 v12, v25, v28
	v_sub_f16_e32 v1, v30, v83
	v_add_f16_e32 v15, v6, v0
	v_sub_f16_e32 v5, v29, v94
	v_add_f16_e32 v23, v24, v23
	;; [unrolled: 2-line block ×3, first 2 shown]
	v_add_f16_e32 v15, v11, v15
	v_sub_f16_e32 v29, v14, v10
	v_lshlrev_b32_e32 v25, 16, v23
	v_fmac_f16_e32 v23, 0xbcab, v24
	v_sub_f16_e32 v24, v4, v13
	v_add_f16_e32 v7, v15, v7
	v_sub_f16_e32 v13, v13, v9
	v_sub_f16_e32 v14, v5, v14
	v_add_f16_e32 v28, v28, v5
	v_mul_f16_e32 v27, 0x3846, v27
	v_and_b32_e32 v26, 0xffff, v7
	v_fmac_f16_e32 v7, 0xbcab, v15
	v_sub_f16_e32 v15, v0, v11
	v_sub_f16_e32 v11, v11, v6
	v_mul_f16_e32 v29, 0x3846, v29
	v_or_b32_e32 v25, v25, v26
	v_add_f16_e32 v26, v12, v8
	v_sub_f16_e32 v12, v1, v12
	v_sub_f16_e32 v5, v10, v5
	v_mul_f16_e32 v15, 0x3a52, v15
	v_mul_f16_e32 v24, 0x3a52, v24
	v_add_f16_e32 v26, v26, v1
	v_sub_f16_e32 v1, v8, v1
	v_sub_f16_e32 v0, v6, v0
	;; [unrolled: 1-line block ×3, first 2 shown]
	v_mul_f16_e32 v6, 0x2b26, v11
	v_mul_f16_e32 v8, 0x2b26, v13
	v_fma_f16 v9, v1, 0xbb00, -v27
	v_mul_f16_e32 v1, 0x3b00, v1
	v_fma_f16 v10, v5, 0xbb00, -v29
	;; [unrolled: 2-line block ×3, first 2 shown]
	v_fma_f16 v0, v0, 0xb9e0, -v15
	v_fma_f16 v8, v4, 0x39e0, -v8
	;; [unrolled: 1-line block ×3, first 2 shown]
	v_fmac_f16_e32 v1, 0x3574, v12
	v_fmac_f16_e32 v5, 0x3574, v14
	v_fmamk_f16 v30, v11, 0x2b26, v15
	v_add_f16_e32 v0, v0, v7
	v_add_f16_e32 v4, v4, v23
	v_fmac_f16_e32 v1, 0xb70e, v26
	v_fmac_f16_e32 v5, 0xb70e, v28
	v_add_f16_e32 v30, v30, v7
	v_add_f16_e32 v6, v6, v7
	v_add_f16_e32 v7, v8, v23
	v_fmac_f16_e32 v9, 0xb70e, v26
	v_fmac_f16_e32 v10, 0xb70e, v28
	v_add_f16_e32 v8, v5, v0
	v_sub_f16_e32 v11, v4, v1
	v_add_f16_e32 v89, v87, v85
	v_sub_f16_e32 v90, v86, v88
	v_fmamk_f16 v32, v13, 0x2b26, v24
	v_fmamk_f16 v33, v14, 0xb574, v29
	;; [unrolled: 1-line block ×3, first 2 shown]
	v_pack_b32_f16 v8, v8, v11
	v_sub_f16_e32 v11, v6, v10
	v_add_f16_e32 v12, v9, v7
	v_add_f16_e32 v6, v10, v6
	v_sub_f16_e32 v7, v7, v9
	v_sub_f16_e32 v0, v0, v5
	v_add_f16_e32 v1, v1, v4
	v_pack_b32_f16 v89, v89, v90
	v_add_f16_e32 v32, v32, v23
	v_fmac_f16_e32 v33, 0xb70e, v28
	v_fmac_f16_e32 v36, 0xb70e, v26
	v_pack_b32_f16 v4, v6, v7
	v_pack_b32_f16 v0, v0, v1
	ds_store_2addr_b32 v180, v37, v89 offset1:7
	v_pack_b32_f16 v11, v11, v12
	v_add_f16_e32 v1, v36, v32
	v_add_f16_e32 v5, v3, v19
	ds_store_2addr_b32 v179, v4, v0 offset0:28 offset1:35
	v_sub_f16_e32 v0, v30, v33
	v_add_f16_e32 v6, v17, v31
	ds_store_2addr_b32 v179, v8, v11 offset0:14 offset1:21
	v_add_f16_e32 v8, v20, v22
	v_add_f16_e32 v10, v16, v18
	v_pack_b32_f16 v0, v0, v1
	v_sub_f16_e32 v1, v2, v34
	v_lshrrev_b32_e32 v13, 16, v81
	v_sub_f16_e32 v3, v3, v19
	v_sub_f16_e32 v7, v17, v31
	ds_store_b32 v179, v0 offset:168
	v_add_f16_e32 v0, v2, v34
	v_add_f16_e32 v2, v21, v35
	v_sub_f16_e32 v9, v22, v20
	v_sub_f16_e32 v11, v18, v16
	;; [unrolled: 1-line block ×3, first 2 shown]
	v_add_f16_e32 v12, v5, v0
	v_add_f16_e32 v15, v6, v2
	v_sub_f16_e32 v18, v9, v3
	v_sub_f16_e32 v20, v11, v7
	v_add_f16_e32 v19, v11, v7
	v_add_f16_e32 v12, v8, v12
	;; [unrolled: 1-line block ×3, first 2 shown]
	v_mul_f16_e32 v18, 0x3846, v18
	v_mul_f16_e32 v20, 0x3846, v20
	v_sub_f16_e32 v11, v4, v11
	v_add_f16_e32 v14, v12, v81
	v_add_f16_e32 v13, v15, v13
	;; [unrolled: 1-line block ×4, first 2 shown]
	v_sub_f16_e32 v38, v32, v36
	v_and_b32_e32 v17, 0xffff, v14
	v_lshlrev_b32_e32 v16, 16, v13
	v_fmac_f16_e32 v14, 0xbcab, v12
	v_fmac_f16_e32 v13, 0xbcab, v15
	v_sub_f16_e32 v12, v0, v8
	v_sub_f16_e32 v8, v8, v5
	v_or_b32_e32 v16, v16, v17
	v_add_f16_e32 v17, v9, v3
	v_sub_f16_e32 v15, v2, v10
	v_sub_f16_e32 v10, v10, v6
	;; [unrolled: 1-line block ×3, first 2 shown]
	v_mul_f16_e32 v12, 0x3a52, v12
	v_add_f16_e32 v17, v17, v1
	v_sub_f16_e32 v1, v3, v1
	v_sub_f16_e32 v3, v7, v4
	v_mul_f16_e32 v15, 0x3a52, v15
	v_sub_f16_e32 v0, v5, v0
	v_sub_f16_e32 v2, v6, v2
	v_mul_f16_e32 v4, 0x2b26, v8
	v_mul_f16_e32 v5, 0x2b26, v10
	v_fma_f16 v6, v1, 0xbb00, -v18
	v_mul_f16_e32 v1, 0x3b00, v1
	v_fma_f16 v7, v3, 0xbb00, -v20
	;; [unrolled: 2-line block ×3, first 2 shown]
	v_fma_f16 v0, v0, 0xb9e0, -v12
	v_fma_f16 v5, v2, 0x39e0, -v5
	;; [unrolled: 1-line block ×3, first 2 shown]
	v_fmac_f16_e32 v1, 0x3574, v9
	v_fmac_f16_e32 v3, 0x3574, v11
	v_add_f16_e32 v0, v0, v14
	v_fmamk_f16 v21, v8, 0x2b26, v12
	v_add_f16_e32 v2, v2, v13
	v_fmac_f16_e32 v1, 0xb70e, v17
	v_fmac_f16_e32 v3, 0xb70e, v19
	v_fmamk_f16 v24, v9, 0xb574, v18
	v_add_f16_e32 v4, v4, v14
	v_add_f16_e32 v5, v5, v13
	v_fmac_f16_e32 v6, 0xb70e, v17
	v_fmac_f16_e32 v7, 0xb70e, v19
	v_add_f16_e32 v8, v3, v0
	v_sub_f16_e32 v9, v2, v1
	v_fmamk_f16 v22, v10, 0x2b26, v15
	v_fmamk_f16 v23, v11, 0xb574, v20
	v_add_f16_e32 v10, v6, v5
	v_sub_f16_e32 v5, v5, v6
	v_pack_b32_f16 v8, v8, v9
	v_sub_f16_e32 v9, v4, v7
	v_add_f16_e32 v4, v7, v4
	v_sub_f16_e32 v0, v0, v3
	v_add_f16_e32 v1, v1, v2
	v_pack_b32_f16 v37, v37, v38
	v_add_f16_e32 v21, v21, v14
	v_add_f16_e32 v22, v22, v13
	v_fmac_f16_e32 v23, 0xb70e, v19
	v_fmac_f16_e32 v24, 0xb70e, v17
	v_pack_b32_f16 v2, v4, v5
	v_pack_b32_f16 v0, v0, v1
	ds_store_2addr_b32 v179, v25, v37 offset1:7
	v_add_f16_e32 v25, v23, v21
	v_sub_f16_e32 v26, v22, v24
	v_add_f16_e32 v1, v24, v22
	ds_store_2addr_b32 v178, v2, v0 offset0:28 offset1:35
	v_sub_f16_e32 v0, v21, v23
	v_pack_b32_f16 v9, v9, v10
	v_pack_b32_f16 v25, v25, v26
	v_lshrrev_b32_e32 v33, 16, v109
	s_delay_alu instid0(VALU_DEP_4)
	v_pack_b32_f16 v0, v0, v1
	ds_store_2addr_b32 v178, v8, v9 offset0:14 offset1:21
	ds_store_2addr_b32 v178, v16, v25 offset1:7
	ds_store_b32 v178, v0 offset:168
	s_waitcnt lgkmcnt(0)
	s_barrier
	buffer_gl0_inv
	ds_load_2addr_b32 v[0:1], v181 offset0:174 offset1:223
	s_waitcnt lgkmcnt(0)
	v_lshrrev_b32_e32 v2, 16, v0
	v_lshrrev_b32_e32 v4, 16, v1
	v_mul_f16_e64 v3, v183, v0
	v_mul_f16_e64 v5, v183, v1
	s_delay_alu instid0(VALU_DEP_4) | instskip(NEXT) | instid1(VALU_DEP_4)
	v_mul_f16_e64 v10, v183, v2
	v_mul_f16_e64 v94, v183, v4
	s_delay_alu instid0(VALU_DEP_4) | instskip(NEXT) | instid1(VALU_DEP_4)
	v_fma_f16 v13, v213, v2, -v3
	v_fma_f16 v98, v213, v4, -v5
	s_delay_alu instid0(VALU_DEP_4) | instskip(NEXT) | instid1(VALU_DEP_4)
	v_fmac_f16_e64 v10, v213, v0
	v_fmac_f16_e64 v94, v213, v1
	ds_load_2addr_b32 v[0:1], v222 offset0:92 offset1:141
	s_waitcnt lgkmcnt(0)
	v_lshrrev_b32_e32 v6, 16, v0
	v_lshrrev_b32_e32 v9, 16, v1
	v_mul_f16_e64 v12, v190, v1
	s_delay_alu instid0(VALU_DEP_3) | instskip(NEXT) | instid1(VALU_DEP_3)
	v_mul_f16_e64 v11, v190, v6
	v_mul_f16_e64 v97, v190, v9
	s_delay_alu instid0(VALU_DEP_3) | instskip(SKIP_1) | instid1(VALU_DEP_4)
	v_fma_f16 v123, v215, v9, -v12
	v_lshrrev_b32_e32 v12, 16, v52
	v_fmac_f16_e64 v11, v215, v0
	v_mul_f16_e64 v0, v190, v0
	v_fmac_f16_e64 v97, v215, v1
	s_delay_alu instid0(VALU_DEP_2) | instskip(SKIP_4) | instid1(VALU_DEP_2)
	v_fma_f16 v14, v215, v6, -v0
	ds_load_2addr_b32 v[0:1], v253 offset0:38 offset1:87
	s_waitcnt lgkmcnt(0)
	v_lshrrev_b32_e32 v2, 16, v1
	v_mul_f16_e64 v3, v177, v1
	v_mul_f16_e64 v87, v177, v2
	s_delay_alu instid0(VALU_DEP_2)
	v_fma_f16 v15, v212, v2, -v3
	ds_load_2addr_b32 v[2:3], v253 offset0:136 offset1:185
	v_fmac_f16_e64 v87, v212, v1
	s_waitcnt lgkmcnt(0)
	v_lshrrev_b32_e32 v6, 16, v2
	v_mul_f16_e64 v7, v177, v2
	v_lshrrev_b32_e32 v1, 16, v3
	s_delay_alu instid0(VALU_DEP_3) | instskip(NEXT) | instid1(VALU_DEP_3)
	v_mul_f16_e64 v99, v177, v6
	v_fma_f16 v100, v212, v6, -v7
	ds_load_2addr_b32 v[5:6], v159 offset0:84 offset1:133
	v_fmac_f16_e64 v99, v212, v2
	v_lshrrev_b32_e32 v2, 16, v56
	s_delay_alu instid0(VALU_DEP_1) | instskip(SKIP_1) | instid1(VALU_DEP_2)
	v_mul_f16_e32 v82, v2, v1
	v_mul_f16_e32 v2, v2, v3
	v_fmac_f16_e32 v82, v56, v3
	s_delay_alu instid0(VALU_DEP_2) | instskip(SKIP_4) | instid1(VALU_DEP_2)
	v_fma_f16 v91, v56, v1, -v2
	ds_load_2addr_b32 v[1:2], v196 offset0:16 offset1:65
	s_waitcnt lgkmcnt(1)
	v_lshrrev_b32_e32 v4, 16, v6
	v_mul_f16_e64 v7, v182, v6
	v_mul_f16_e64 v90, v182, v4
	s_delay_alu instid0(VALU_DEP_2)
	v_fma_f16 v89, v214, v4, -v7
	ds_load_2addr_b32 v[7:8], v207 offset0:54 offset1:103
	v_fmac_f16_e64 v90, v214, v6
	s_waitcnt lgkmcnt(1)
	v_lshrrev_b32_e32 v6, 16, v1
	s_waitcnt lgkmcnt(0)
	v_lshrrev_b32_e32 v4, 16, v7
	v_mul_f16_e64 v16, v182, v7
	v_lshrrev_b32_e32 v3, 16, v8
	s_delay_alu instid0(VALU_DEP_3) | instskip(NEXT) | instid1(VALU_DEP_3)
	v_mul_f16_e64 v101, v182, v4
	v_fma_f16 v102, v214, v4, -v16
	v_lshrrev_b32_e32 v4, 16, v58
	s_delay_alu instid0(VALU_DEP_3) | instskip(NEXT) | instid1(VALU_DEP_2)
	v_fmac_f16_e64 v101, v214, v7
	v_mul_f16_e32 v83, v4, v3
	v_mul_f16_e32 v4, v4, v8
	s_delay_alu instid0(VALU_DEP_2) | instskip(NEXT) | instid1(VALU_DEP_2)
	v_fmac_f16_e32 v83, v58, v8
	v_fma_f16 v84, v58, v3, -v4
	ds_load_2addr_b32 v[3:4], v222 offset0:190 offset1:239
	v_lshrrev_b32_e32 v8, 16, v57
	s_delay_alu instid0(VALU_DEP_1) | instskip(SKIP_2) | instid1(VALU_DEP_3)
	v_mul_f16_e32 v7, v8, v1
	v_mul_f16_e32 v93, v8, v6
	v_lshrrev_b32_e32 v8, 16, v59
	v_fma_f16 v92, v57, v6, -v7
	s_delay_alu instid0(VALU_DEP_3) | instskip(SKIP_4) | instid1(VALU_DEP_2)
	v_fmac_f16_e32 v93, v57, v1
	v_lshrrev_b32_e32 v1, 16, v53
	s_waitcnt lgkmcnt(0)
	v_lshrrev_b32_e32 v6, 16, v3
	v_mul_f16_e32 v7, v8, v3
	v_mul_f16_e32 v96, v8, v6
	s_delay_alu instid0(VALU_DEP_2) | instskip(SKIP_2) | instid1(VALU_DEP_4)
	v_fma_f16 v95, v59, v6, -v7
	v_mul_f16_e32 v6, v1, v2
	v_lshrrev_b32_e32 v7, 16, v4
	v_fmac_f16_e32 v96, v59, v3
	v_lshrrev_b32_e32 v3, 16, v2
	s_delay_alu instid0(VALU_DEP_1) | instskip(SKIP_1) | instid1(VALU_DEP_2)
	v_mul_f16_e32 v39, v1, v3
	v_lshrrev_b32_e32 v1, 16, v55
	v_fmac_f16_e32 v39, v53, v2
	s_delay_alu instid0(VALU_DEP_2)
	v_mul_f16_e32 v56, v1, v7
	v_mul_f16_e32 v8, v1, v4
	ds_load_2addr_b32 v[1:2], v238 offset0:106 offset1:155
	v_fma_f16 v53, v53, v3, -v6
	v_fmac_f16_e32 v56, v55, v4
	v_fma_f16 v55, v55, v7, -v8
	v_lshrrev_b32_e32 v8, 16, v49
	s_waitcnt lgkmcnt(0)
	v_lshrrev_b32_e32 v4, 16, v1
	v_mul_f16_e32 v9, v12, v1
	s_delay_alu instid0(VALU_DEP_2) | instskip(NEXT) | instid1(VALU_DEP_2)
	v_mul_f16_e32 v81, v12, v4
	v_fma_f16 v59, v52, v4, -v9
	ds_load_2addr_b32 v[3:4], v207 offset0:152 offset1:201
	v_lshrrev_b32_e32 v12, 16, v54
	v_fmac_f16_e32 v81, v52, v1
	v_lshrrev_b32_e32 v1, 16, v2
	s_waitcnt lgkmcnt(0)
	v_lshrrev_b32_e32 v6, 16, v3
	v_mul_f16_e32 v9, v12, v3
	s_delay_alu instid0(VALU_DEP_2) | instskip(NEXT) | instid1(VALU_DEP_2)
	v_mul_f16_e32 v58, v12, v6
	v_fma_f16 v57, v54, v6, -v9
	v_lshrrev_b32_e32 v6, 16, v50
	s_delay_alu instid0(VALU_DEP_3) | instskip(SKIP_1) | instid1(VALU_DEP_1)
	v_fmac_f16_e32 v58, v54, v3
	v_lshrrev_b32_e32 v3, 16, v48
	v_mul_f16_e32 v29, v3, v1
	s_delay_alu instid0(VALU_DEP_1) | instskip(SKIP_2) | instid1(VALU_DEP_2)
	v_fmac_f16_e32 v29, v48, v2
	v_mul_f16_e32 v2, v3, v2
	v_lshrrev_b32_e32 v3, 16, v4
	v_fma_f16 v34, v48, v1, -v2
	s_delay_alu instid0(VALU_DEP_2) | instskip(SKIP_3) | instid1(VALU_DEP_1)
	v_mul_f16_e32 v30, v6, v3
	ds_load_2addr_b32 v[1:2], v196 offset0:114 offset1:163
	v_fmac_f16_e32 v30, v50, v4
	v_mul_f16_e32 v4, v6, v4
	v_fma_f16 v32, v50, v3, -v4
	ds_load_2addr_b32 v[3:4], v195 offset0:32 offset1:81
	s_waitcnt lgkmcnt(1)
	v_lshrrev_b32_e32 v6, 16, v1
	v_mul_f16_e32 v7, v8, v1
	s_delay_alu instid0(VALU_DEP_2) | instskip(NEXT) | instid1(VALU_DEP_2)
	v_mul_f16_e32 v36, v8, v6
	v_fma_f16 v35, v49, v6, -v7
	s_delay_alu instid0(VALU_DEP_2) | instskip(SKIP_4) | instid1(VALU_DEP_3)
	v_fmac_f16_e32 v36, v49, v1
	s_waitcnt lgkmcnt(0)
	v_lshrrev_b32_e32 v6, 16, v3
	v_mul_f16_e64 v7, v249, v3
	v_lshrrev_b32_e32 v8, 16, v4
	v_mul_f16_e64 v38, v249, v6
	s_delay_alu instid0(VALU_DEP_3) | instskip(SKIP_1) | instid1(VALU_DEP_4)
	v_fma_f16 v37, v51, v6, -v7
	v_mul_f16_e64 v6, v234, v2
	v_mul_f16_e64 v20, v235, v8
	s_delay_alu instid0(VALU_DEP_4) | instskip(SKIP_1) | instid1(VALU_DEP_3)
	v_fmac_f16_e32 v38, v51, v3
	v_lshrrev_b32_e32 v3, 16, v2
	v_fmac_f16_e32 v20, v47, v4
	v_mul_f16_e64 v4, v235, v4
	s_delay_alu instid0(VALU_DEP_3) | instskip(SKIP_1) | instid1(VALU_DEP_3)
	v_mul_f16_e64 v19, v234, v3
	v_fma_f16 v21, v45, v3, -v6
	v_fma_f16 v24, v47, v8, -v4
	v_mul_f16_e64 v8, v203, v5
	s_delay_alu instid0(VALU_DEP_4) | instskip(SKIP_4) | instid1(VALU_DEP_2)
	v_fmac_f16_e32 v19, v45, v2
	ds_load_2addr_b32 v[1:2], v181 offset0:76 offset1:125
	s_waitcnt lgkmcnt(0)
	v_lshrrev_b32_e32 v7, 16, v1
	v_mul_f16_e64 v9, v229, v1
	v_mul_f16_e64 v26, v229, v7
	s_delay_alu instid0(VALU_DEP_2)
	v_fma_f16 v25, v44, v7, -v9
	ds_load_2addr_b32 v[6:7], v158 offset0:122 offset1:171
	v_fmac_f16_e32 v26, v44, v1
	v_lshrrev_b32_e32 v1, 16, v2
	s_waitcnt lgkmcnt(0)
	v_lshrrev_b32_e32 v3, 16, v6
	v_mul_f16_e64 v9, v227, v6
	v_mul_f16_e64 v12, v204, v7
	s_delay_alu instid0(VALU_DEP_3) | instskip(NEXT) | instid1(VALU_DEP_3)
	v_mul_f16_e64 v23, v227, v3
	v_fma_f16 v22, v46, v3, -v9
	v_mul_f16_e64 v3, v202, v1
	v_lshrrev_b32_e32 v9, 16, v7
	s_delay_alu instid0(VALU_DEP_4) | instskip(SKIP_1) | instid1(VALU_DEP_4)
	v_fmac_f16_e32 v23, v46, v6
	v_lshrrev_b32_e32 v6, 16, v5
	v_fmac_f16_e32 v3, v40, v2
	v_mul_f16_e64 v2, v202, v2
	s_delay_alu instid0(VALU_DEP_3) | instskip(NEXT) | instid1(VALU_DEP_2)
	v_mul_f16_e64 v4, v203, v6
	v_fma_f16 v16, v40, v1, -v2
	ds_load_2addr_b32 v[1:2], v195 offset0:130 offset1:179
	v_fmac_f16_e32 v4, v41, v5
	v_mul_f16_e64 v5, v204, v9
	s_delay_alu instid0(VALU_DEP_1)
	v_fmac_f16_e32 v5, v42, v7
	v_fma_f16 v7, v41, v6, -v8
	v_fma_f16 v6, v42, v9, -v12
	v_lshrrev_b32_e32 v12, 16, v43
	s_waitcnt lgkmcnt(0)
	v_lshrrev_b32_e32 v8, 16, v1
	s_delay_alu instid0(VALU_DEP_2) | instskip(SKIP_1) | instid1(VALU_DEP_3)
	v_mul_f16_e32 v9, v12, v1
	v_lshrrev_b32_e32 v28, 16, v2
	v_mul_f16_e32 v18, v12, v8
	s_delay_alu instid0(VALU_DEP_3) | instskip(SKIP_3) | instid1(VALU_DEP_2)
	v_fma_f16 v17, v43, v8, -v9
	ds_load_2addr_b32 v[8:9], v186 offset0:10 offset1:59
	v_mul_f16_e64 v128, v164, v28
	v_fmac_f16_e32 v18, v43, v1
	v_fmac_f16_e64 v128, v240, v2
	v_mul_f16_e64 v2, v164, v2
	s_delay_alu instid0(VALU_DEP_1) | instskip(SKIP_3) | instid1(VALU_DEP_2)
	v_fma_f16 v129, v240, v28, -v2
	s_waitcnt lgkmcnt(0)
	v_lshrrev_b32_e32 v1, 16, v8
	v_lshrrev_b32_e32 v27, 16, v9
	v_mul_f16_e64 v12, v175, v1
	s_delay_alu instid0(VALU_DEP_2) | instskip(NEXT) | instid1(VALU_DEP_2)
	v_mul_f16_e64 v124, v175, v27
	v_fmac_f16_e64 v12, v241, v8
	v_mul_f16_e64 v8, v175, v8
	s_delay_alu instid0(VALU_DEP_3) | instskip(SKIP_1) | instid1(VALU_DEP_4)
	v_fmac_f16_e64 v124, v241, v9
	v_mul_f16_e64 v9, v175, v9
	v_add_f16_e32 v80, v87, v12
	s_delay_alu instid0(VALU_DEP_4)
	v_fma_f16 v8, v241, v1, -v8
	ds_load_2addr_b32 v[1:2], v250 offset0:100 offset1:149
	v_fma_f16 v127, v241, v27, -v9
	v_lshrrev_b32_e32 v9, 16, v111
	v_sub_f16_e32 v87, v87, v12
	v_sub_f16_e32 v12, v14, v89
	;; [unrolled: 1-line block ×3, first 2 shown]
	s_waitcnt lgkmcnt(0)
	v_lshrrev_b32_e32 v28, 16, v1
	v_mul_f16_e64 v31, v164, v1
	s_delay_alu instid0(VALU_DEP_2) | instskip(NEXT) | instid1(VALU_DEP_2)
	v_mul_f16_e64 v125, v164, v28
	v_fma_f16 v126, v240, v28, -v31
	v_lshrrev_b32_e32 v28, 16, v112
	s_delay_alu instid0(VALU_DEP_3) | instskip(SKIP_1) | instid1(VALU_DEP_1)
	v_fmac_f16_e64 v125, v240, v1
	v_lshrrev_b32_e32 v1, 16, v2
	v_mul_f16_e32 v52, v9, v1
	v_mul_f16_e32 v9, v9, v2
	s_delay_alu instid0(VALU_DEP_2) | instskip(NEXT) | instid1(VALU_DEP_2)
	v_fmac_f16_e32 v52, v111, v2
	v_fma_f16 v54, v111, v1, -v9
	ds_load_2addr_b32 v[1:2], v186 offset0:108 offset1:157
	s_waitcnt lgkmcnt(0)
	v_lshrrev_b32_e32 v9, 16, v1
	v_mul_f16_e32 v27, v28, v1
	s_delay_alu instid0(VALU_DEP_2) | instskip(NEXT) | instid1(VALU_DEP_2)
	v_mul_f16_e32 v86, v28, v9
	v_fma_f16 v85, v112, v9, -v27
	v_lshrrev_b32_e32 v9, 16, v2
	s_delay_alu instid0(VALU_DEP_3) | instskip(SKIP_1) | instid1(VALU_DEP_1)
	v_fmac_f16_e32 v86, v112, v1
	v_lshrrev_b32_e32 v1, 16, v110
	v_mul_f16_e32 v48, v1, v9
	v_mul_f16_e32 v27, v1, v2
	s_delay_alu instid0(VALU_DEP_2)
	v_fmac_f16_e32 v48, v110, v2
	ds_load_2addr_b32 v[1:2], v176 offset0:70 offset1:119
	v_fma_f16 v51, v110, v9, -v27
	v_lshrrev_b32_e32 v9, 16, v107
	v_sub_f16_e32 v110, v88, v12
	s_waitcnt lgkmcnt(0)
	v_lshrrev_b32_e32 v28, 16, v1
	v_mul_f16_e32 v31, v33, v1
	s_delay_alu instid0(VALU_DEP_2) | instskip(NEXT) | instid1(VALU_DEP_2)
	v_mul_f16_e32 v50, v33, v28
	v_fma_f16 v49, v109, v28, -v31
	v_lshrrev_b32_e32 v28, 16, v108
	v_lshrrev_b32_e32 v33, 16, v105
	s_delay_alu instid0(VALU_DEP_4) | instskip(SKIP_1) | instid1(VALU_DEP_1)
	v_fmac_f16_e32 v50, v109, v1
	v_lshrrev_b32_e32 v1, 16, v2
	v_mul_f16_e32 v44, v9, v1
	v_mul_f16_e32 v9, v9, v2
	s_delay_alu instid0(VALU_DEP_2) | instskip(NEXT) | instid1(VALU_DEP_2)
	v_fmac_f16_e32 v44, v107, v2
	v_fma_f16 v45, v107, v1, -v9
	ds_load_2addr_b32 v[1:2], v186 offset0:206 offset1:255
	v_add_f16_e64 v107, v13, v129
	s_waitcnt lgkmcnt(0)
	v_lshrrev_b32_e32 v9, 16, v1
	v_mul_f16_e32 v27, v28, v1
	s_delay_alu instid0(VALU_DEP_2) | instskip(NEXT) | instid1(VALU_DEP_2)
	v_mul_f16_e32 v47, v28, v9
	v_fma_f16 v46, v108, v9, -v27
	v_lshrrev_b32_e32 v9, 16, v2
	s_delay_alu instid0(VALU_DEP_3) | instskip(SKIP_1) | instid1(VALU_DEP_1)
	v_fmac_f16_e32 v47, v108, v1
	v_lshrrev_b32_e32 v1, 16, v106
	v_mul_f16_e32 v40, v1, v9
	v_mul_f16_e32 v27, v1, v2
	s_delay_alu instid0(VALU_DEP_2)
	v_fmac_f16_e32 v40, v106, v2
	ds_load_2addr_b32 v[1:2], v176 offset0:168 offset1:217
	v_fma_f16 v43, v106, v9, -v27
	v_sub_f16_e64 v106, v13, v129
	s_waitcnt lgkmcnt(0)
	v_lshrrev_b32_e32 v28, 16, v1
	v_mul_f16_e32 v31, v33, v1
	v_mul_f16_e64 v9, v224, v2
	s_delay_alu instid0(VALU_DEP_3) | instskip(NEXT) | instid1(VALU_DEP_3)
	v_mul_f16_e32 v42, v33, v28
	v_fma_f16 v41, v105, v28, -v31
	s_delay_alu instid0(VALU_DEP_2) | instskip(SKIP_2) | instid1(VALU_DEP_2)
	v_fmac_f16_e32 v42, v105, v1
	v_lshrrev_b32_e32 v1, 16, v2
	v_sub_f16_e64 v105, v10, v128
	v_mul_f16_e64 v27, v224, v1
	v_fma_f16 v28, v103, v1, -v9
	ds_load_b32 v1, v251 offset:9408
	v_fmac_f16_e32 v27, v103, v2
	v_add_f16_e32 v103, v15, v8
	s_waitcnt lgkmcnt(0)
	v_lshrrev_b32_e32 v2, 16, v1
	v_mul_f16_e64 v9, v225, v1
	s_delay_alu instid0(VALU_DEP_2) | instskip(NEXT) | instid1(VALU_DEP_2)
	v_mul_f16_e64 v31, v225, v2
	v_fma_f16 v33, v104, v2, -v9
	v_add_f16_e32 v9, v90, v11
	s_delay_alu instid0(VALU_DEP_3) | instskip(SKIP_3) | instid1(VALU_DEP_3)
	v_fmac_f16_e32 v31, v104, v1
	v_add_f16_e64 v104, v10, v128
	v_sub_f16_e32 v10, v11, v90
	v_add_f16_e32 v11, v89, v14
	v_add_f16_e32 v1, v104, v80
	v_sub_f16_e64 v128, v9, v104
	s_delay_alu instid0(VALU_DEP_3) | instskip(SKIP_1) | instid1(VALU_DEP_4)
	v_sub_f16_e32 v112, v11, v107
	v_sub_f16_e32 v109, v87, v10
	v_add_f16_e32 v13, v9, v1
	v_add_f16_e32 v1, v107, v103
	s_delay_alu instid0(VALU_DEP_1) | instskip(SKIP_4) | instid1(VALU_DEP_2)
	v_add_f16_e32 v14, v11, v1
	ds_load_2addr_b32 v[1:2], v251 offset1:49
	s_waitcnt lgkmcnt(0)
	v_lshrrev_b32_e32 v8, 16, v1
	v_add_f16_e32 v1, v13, v1
	v_add_f16_e32 v89, v14, v8
	s_delay_alu instid0(VALU_DEP_2)
	v_and_b32_e32 v15, 0xffff, v1
	v_fmac_f16_e32 v1, 0xbcab, v13
	v_sub_f16_e32 v13, v80, v9
	v_add_f16_e32 v9, v10, v105
	v_lshlrev_b32_e32 v8, 16, v89
	v_fmac_f16_e32 v89, 0xbcab, v14
	v_sub_f16_e32 v14, v103, v11
	v_sub_f16_e32 v11, v10, v105
	v_mul_f16_e64 v133, 0x3a52, v13
	v_or_b32_e32 v8, v8, v15
	v_sub_f16_e32 v15, v12, v106
	v_add_f16_e32 v10, v12, v106
	v_mul_f16_e64 v131, 0x3a52, v14
	v_mul_f16_e64 v132, 0x3846, v11
	v_fma_f16 v11, 0x2b26, v128, v133
	v_mul_f16_e64 v129, 0x3846, v15
	v_add_f16_e32 v9, v9, v87
	v_add_f16_e32 v10, v10, v88
	v_fma_f16 v130, 0xb574, v109, v132
	v_add_f16_e32 v90, v11, v1
	v_fma_f16 v11, 0x2b26, v112, v131
	v_fma_f16 v111, 0xb574, v110, v129
	v_sub_f16_e32 v14, v105, v87
	v_fmac_f16_e64 v130, 0xb70e, v9
	v_sub_f16_e32 v15, v106, v88
	v_add_f16_e32 v108, v11, v89
	v_fmac_f16_e32 v111, 0xb70e, v10
	v_mul_f16_e32 v87, 0x2b26, v112
	v_fma_f16 v88, v14, 0xbb00, -v132
	v_mul_f16_e32 v14, 0x3b00, v14
	v_sub_f16_e64 v134, v108, v130
	v_add_f16_e32 v11, v111, v90
	s_delay_alu instid0(VALU_DEP_4) | instskip(NEXT) | instid1(VALU_DEP_4)
	v_fmac_f16_e32 v88, 0xb70e, v9
	v_fmac_f16_e32 v14, 0x3574, v109
	s_delay_alu instid0(VALU_DEP_3)
	v_pack_b32_f16 v13, v11, v134
	ds_load_2addr_b32 v[11:12], v251 offset0:98 offset1:147
	ds_load_2addr_b32 v[134:135], v251 offset0:196 offset1:245
	s_waitcnt lgkmcnt(0)
	s_barrier
	buffer_gl0_inv
	ds_store_2addr_b32 v251, v8, v13 offset1:49
	v_sub_f16_e32 v8, v104, v80
	v_sub_f16_e32 v13, v107, v103
	v_mul_f16_e64 v80, 0x2b26, v128
	v_fma_f16 v103, v15, 0xbb00, -v129
	v_mul_f16_e32 v15, 0x3b00, v15
	v_fmac_f16_e32 v14, 0xb70e, v9
	v_fma_f16 v87, v13, 0x39e0, -v87
	v_fma_f16 v80, v8, 0x39e0, -v80
	;; [unrolled: 1-line block ×4, first 2 shown]
	v_fmac_f16_e32 v15, 0x3574, v110
	v_fmac_f16_e32 v103, 0xb70e, v10
	v_add_f16_e32 v80, v80, v1
	v_add_f16_e32 v1, v8, v1
	;; [unrolled: 1-line block ×3, first 2 shown]
	v_fmac_f16_e32 v15, 0xb70e, v10
	v_add_f16_e32 v8, v87, v89
	s_delay_alu instid0(VALU_DEP_3) | instskip(NEXT) | instid1(VALU_DEP_3)
	v_sub_f16_e32 v10, v13, v14
	v_add_f16_e32 v9, v15, v1
	s_delay_alu instid0(VALU_DEP_3)
	v_add_f16_e32 v87, v88, v8
	v_sub_f16_e32 v8, v8, v88
	v_sub_f16_e32 v1, v1, v15
	v_add_f16_e32 v88, v102, v123
	v_pack_b32_f16 v9, v9, v10
	v_sub_f16_e32 v10, v80, v103
	v_lshrrev_b32_e32 v15, 16, v2
	s_delay_alu instid0(VALU_DEP_2)
	v_pack_b32_f16 v10, v10, v87
	v_add_f16_e32 v87, v98, v126
	ds_store_2addr_b32 v251, v9, v10 offset0:98 offset1:147
	v_add_f16_e32 v9, v103, v80
	v_add_f16_e32 v10, v14, v13
	;; [unrolled: 1-line block ×4, first 2 shown]
	v_sub_f16_e32 v97, v97, v101
	v_pack_b32_f16 v8, v9, v8
	v_pack_b32_f16 v1, v1, v10
	v_add_f16_e32 v9, v99, v124
	v_add_f16_e32 v10, v94, v125
	;; [unrolled: 1-line block ×3, first 2 shown]
	ds_store_2addr_b32 v251, v8, v1 offset0:196 offset1:245
	v_sub_f16_e32 v1, v90, v111
	v_add_f16_e32 v14, v10, v9
	v_add_f16_e32 v89, v88, v89
	v_add_f16_e64 v8, v130, v108
	s_delay_alu instid0(VALU_DEP_3) | instskip(NEXT) | instid1(VALU_DEP_3)
	v_add_f16_e32 v14, v13, v14
	v_add_f16_e32 v15, v89, v15
	s_delay_alu instid0(VALU_DEP_3) | instskip(SKIP_1) | instid1(VALU_DEP_4)
	v_pack_b32_f16 v1, v1, v8
	v_sub_f16_e32 v8, v100, v127
	v_add_f16_e32 v2, v14, v2
	s_delay_alu instid0(VALU_DEP_4) | instskip(SKIP_1) | instid1(VALU_DEP_3)
	v_lshlrev_b32_e32 v90, 16, v15
	v_fmac_f16_e32 v15, 0xbcab, v89
	v_and_b32_e32 v103, 0xffff, v2
	v_fmac_f16_e32 v2, 0xbcab, v14
	s_delay_alu instid0(VALU_DEP_2)
	v_or_b32_e32 v90, v90, v103
	ds_store_2addr_b32 v253, v1, v90 offset0:38 offset1:87
	v_sub_f16_e32 v90, v94, v125
	v_sub_f16_e32 v1, v99, v124
	;; [unrolled: 1-line block ×10, first 2 shown]
	v_add_f16_e32 v88, v97, v90
	v_sub_f16_e32 v100, v97, v90
	v_sub_f16_e32 v97, v1, v97
	;; [unrolled: 1-line block ×4, first 2 shown]
	v_add_f16_e32 v1, v88, v1
	v_add_f16_e32 v88, v98, v94
	v_sub_f16_e32 v94, v94, v8
	v_mul_f16_e32 v9, 0x3a52, v9
	v_mul_f16_e32 v14, 0x3a52, v80
	v_sub_f16_e32 v98, v8, v98
	v_add_f16_e32 v8, v88, v8
	v_mul_f16_e32 v80, 0x3846, v100
	v_mul_f16_e32 v88, 0x3846, v101
	;; [unrolled: 1-line block ×4, first 2 shown]
	v_fmamk_f16 v101, v10, 0x2b26, v9
	v_fmamk_f16 v102, v87, 0x2b26, v14
	v_mul_f16_e32 v10, 0x2b26, v10
	v_mul_f16_e32 v87, 0x2b26, v87
	v_fmac_f16_e32 v89, 0x3574, v97
	v_fmamk_f16 v97, v97, 0xb574, v80
	v_fmac_f16_e32 v100, 0x3574, v98
	v_fmamk_f16 v98, v98, 0xb574, v88
	v_fma_f16 v9, v99, 0xb9e0, -v9
	v_fma_f16 v14, v13, 0xb9e0, -v14
	;; [unrolled: 1-line block ×6, first 2 shown]
	v_add_f16_e32 v101, v101, v2
	v_fmac_f16_e32 v98, 0xb70e, v8
	v_add_f16_e32 v9, v9, v2
	v_fmac_f16_e32 v100, 0xb70e, v8
	;; [unrolled: 2-line block ×5, first 2 shown]
	v_fmac_f16_e32 v89, 0xb70e, v1
	v_sub_f16_e32 v1, v2, v88
	v_add_f16_e32 v2, v88, v2
	v_add_f16_e32 v10, v80, v8
	v_sub_f16_e32 v8, v8, v80
	v_add_f16_e32 v103, v98, v101
	v_sub_f16_e32 v104, v102, v97
	v_add_f16_e32 v14, v14, v15
	v_pack_b32_f16 v1, v1, v10
	v_pack_b32_f16 v2, v2, v8
	v_sub_f16_e32 v8, v101, v98
	v_pack_b32_f16 v103, v103, v104
	v_add_f16_e32 v104, v100, v9
	v_sub_f16_e32 v105, v14, v89
	ds_store_2addr_b32 v238, v1, v2 offset0:106 offset1:155
	v_sub_f16_e32 v1, v9, v100
	v_add_f16_e32 v2, v89, v14
	v_add_f16_e32 v9, v97, v102
	;; [unrolled: 1-line block ×4, first 2 shown]
	v_sub_f16_e32 v13, v93, v52
	v_pack_b32_f16 v1, v1, v2
	v_pack_b32_f16 v2, v8, v9
	v_add_f16_e32 v8, v91, v85
	v_sub_f16_e32 v15, v92, v54
	v_add_f16_e32 v52, v83, v96
	v_sub_f16_e32 v54, v96, v83
	ds_store_2addr_b32 v181, v1, v2 offset0:76 offset1:125
	v_add_f16_e32 v1, v82, v86
	v_sub_f16_e32 v2, v82, v86
	v_add_f16_e32 v80, v84, v95
	v_sub_f16_e32 v82, v95, v84
	v_add_f16_e32 v84, v14, v8
	v_add_f16_e32 v83, v10, v1
	v_sub_f16_e32 v9, v91, v85
	v_lshrrev_b32_e32 v85, 16, v11
	v_sub_f16_e32 v88, v54, v13
	v_add_f16_e32 v84, v80, v84
	v_add_f16_e32 v83, v52, v83
	;; [unrolled: 1-line block ×3, first 2 shown]
	v_sub_f16_e32 v90, v82, v15
	v_sub_f16_e32 v82, v9, v82
	v_add_f16_e32 v85, v84, v85
	v_add_f16_e32 v11, v83, v11
	;; [unrolled: 1-line block ×3, first 2 shown]
	v_mul_f16_e32 v88, 0x3846, v88
	v_mul_f16_e32 v90, 0x3846, v90
	v_lshlrev_b32_e32 v86, 16, v85
	v_and_b32_e32 v87, 0xffff, v11
	v_fmac_f16_e32 v11, 0xbcab, v83
	v_fmac_f16_e32 v85, 0xbcab, v84
	v_sub_f16_e32 v83, v1, v52
	v_sub_f16_e32 v52, v52, v10
	v_or_b32_e32 v86, v86, v87
	v_add_f16_e32 v87, v54, v13
	v_sub_f16_e32 v84, v8, v80
	v_sub_f16_e32 v80, v80, v14
	;; [unrolled: 1-line block ×4, first 2 shown]
	v_add_f16_e32 v87, v87, v2
	v_sub_f16_e32 v2, v13, v2
	v_mul_f16_e32 v83, 0x3a52, v83
	v_mul_f16_e32 v84, 0x3a52, v84
	v_sub_f16_e32 v1, v10, v1
	v_sub_f16_e32 v8, v14, v8
	v_mul_f16_e32 v10, 0x2b26, v52
	v_mul_f16_e32 v13, 0x2b26, v80
	v_fma_f16 v14, v2, 0xbb00, -v88
	v_mul_f16_e32 v2, 0x3b00, v2
	v_fma_f16 v15, v9, 0xbb00, -v90
	v_mul_f16_e32 v9, 0x3b00, v9
	v_fma_f16 v10, v1, 0x39e0, -v10
	v_fma_f16 v1, v1, 0xb9e0, -v83
	v_fma_f16 v13, v8, 0x39e0, -v13
	;; [unrolled: 1-line block ×3, first 2 shown]
	v_fmac_f16_e32 v2, 0x3574, v54
	v_fmac_f16_e32 v9, 0x3574, v82
	v_fmamk_f16 v91, v52, 0x2b26, v83
	v_add_f16_e32 v1, v1, v11
	v_add_f16_e32 v8, v8, v85
	v_fmac_f16_e32 v2, 0xb70e, v87
	v_fmac_f16_e32 v9, 0xb70e, v89
	v_add_f16_e32 v91, v91, v11
	v_add_f16_e32 v10, v10, v11
	v_add_f16_e32 v11, v13, v85
	v_fmac_f16_e32 v14, 0xb70e, v87
	v_fmac_f16_e32 v15, 0xb70e, v89
	v_add_f16_e32 v13, v9, v1
	v_sub_f16_e32 v52, v8, v2
	v_fmamk_f16 v94, v54, 0xb574, v88
	v_add_f16_e32 v54, v14, v11
	v_sub_f16_e32 v11, v11, v14
	v_sub_f16_e32 v1, v1, v9
	v_pack_b32_f16 v13, v13, v52
	v_sub_f16_e32 v52, v10, v15
	v_add_f16_e32 v10, v15, v10
	v_add_f16_e32 v2, v2, v8
	v_pack_b32_f16 v104, v104, v105
	v_add_f16_e32 v15, v58, v56
	v_pack_b32_f16 v52, v52, v54
	scratch_load_b32 v54, off, off offset:404 ; 4-byte Folded Reload
	v_pack_b32_f16 v8, v10, v11
	v_pack_b32_f16 v1, v1, v2
	ds_store_2addr_b32 v253, v103, v104 offset0:136 offset1:185
	v_add_f16_e32 v10, v39, v50
	v_sub_f16_e32 v2, v81, v48
	v_sub_f16_e32 v11, v39, v50
	;; [unrolled: 1-line block ×5, first 2 shown]
	v_fmamk_f16 v92, v80, 0x2b26, v84
	v_fmamk_f16 v93, v82, 0xb574, v90
	v_fmac_f16_e32 v94, 0xb70e, v87
	s_delay_alu instid0(VALU_DEP_3) | instskip(NEXT) | instid1(VALU_DEP_3)
	v_add_f16_e32 v92, v92, v85
	v_fmac_f16_e32 v93, 0xb70e, v89
	s_delay_alu instid0(VALU_DEP_2) | instskip(NEXT) | instid1(VALU_DEP_2)
	v_sub_f16_e32 v96, v92, v94
	v_add_f16_e32 v95, v93, v91
	s_delay_alu instid0(VALU_DEP_1)
	v_pack_b32_f16 v95, v95, v96
	scratch_load_b32 v96, off, off offset:400 ; 4-byte Folded Reload
	s_waitcnt vmcnt(1)
	ds_store_2addr_b32 v54, v13, v52 offset0:16 offset1:65
	ds_store_2addr_b32 v54, v8, v1 offset0:114 offset1:163
	v_add_f16_e32 v1, v81, v48
	v_add_f16_e32 v8, v59, v51
	v_add_f16_e32 v13, v53, v49
	v_add_f16_e32 v48, v57, v55
	v_lshrrev_b32_e32 v51, 16, v12
	v_add_f16_e32 v50, v10, v1
	v_sub_f16_e32 v49, v55, v57
	v_add_f16_e32 v52, v13, v8
	v_sub_f16_e32 v55, v39, v11
	s_delay_alu instid0(VALU_DEP_4) | instskip(NEXT) | instid1(VALU_DEP_4)
	v_add_f16_e32 v50, v15, v50
	v_add_f16_e32 v56, v49, v14
	s_delay_alu instid0(VALU_DEP_4)
	v_add_f16_e32 v52, v48, v52
	v_sub_f16_e32 v57, v49, v14
	v_sub_f16_e32 v49, v9, v49
	v_add_f16_e32 v12, v50, v12
	v_add_f16_e32 v56, v56, v9
	;; [unrolled: 1-line block ×3, first 2 shown]
	v_mul_f16_e32 v55, 0x3846, v55
	v_mul_f16_e32 v57, 0x3846, v57
	v_and_b32_e32 v54, 0xffff, v12
	v_fmac_f16_e32 v12, 0xbcab, v50
	v_lshlrev_b32_e32 v53, 16, v51
	v_fmac_f16_e32 v51, 0xbcab, v52
	v_sub_f16_e32 v50, v1, v15
	v_sub_f16_e32 v15, v15, v10
	;; [unrolled: 1-line block ×3, first 2 shown]
	v_or_b32_e32 v53, v53, v54
	v_add_f16_e32 v54, v39, v11
	v_sub_f16_e32 v48, v48, v13
	v_sub_f16_e32 v39, v2, v39
	;; [unrolled: 1-line block ×3, first 2 shown]
	v_mul_f16_e32 v50, 0x3a52, v50
	v_add_f16_e32 v54, v54, v2
	v_sub_f16_e32 v2, v11, v2
	v_mul_f16_e32 v52, 0x3a52, v52
	v_sub_f16_e32 v1, v10, v1
	v_sub_f16_e32 v8, v13, v8
	v_mul_f16_e32 v10, 0x2b26, v15
	v_mul_f16_e32 v11, 0x2b26, v48
	v_fma_f16 v13, v2, 0xbb00, -v55
	v_mul_f16_e32 v2, 0x3b00, v2
	v_fma_f16 v14, v9, 0xbb00, -v57
	;; [unrolled: 2-line block ×3, first 2 shown]
	v_fma_f16 v1, v1, 0xb9e0, -v50
	v_fma_f16 v11, v8, 0x39e0, -v11
	v_fma_f16 v8, v8, 0xb9e0, -v52
	v_fmac_f16_e32 v2, 0x3574, v39
	v_fmac_f16_e32 v9, 0x3574, v49
	v_fmamk_f16 v58, v15, 0x2b26, v50
	v_add_f16_e32 v1, v1, v12
	v_add_f16_e32 v8, v8, v51
	v_fmac_f16_e32 v2, 0xb70e, v54
	v_fmac_f16_e32 v9, 0xb70e, v56
	v_add_f16_e32 v58, v58, v12
	v_add_f16_e32 v10, v10, v12
	;; [unrolled: 1-line block ×3, first 2 shown]
	v_fmac_f16_e32 v13, 0xb70e, v54
	v_fmac_f16_e32 v14, 0xb70e, v56
	v_add_f16_e32 v12, v9, v1
	v_sub_f16_e32 v15, v8, v2
	v_fmamk_f16 v81, v39, 0xb574, v55
	v_add_f16_e32 v39, v13, v11
	v_sub_f16_e32 v11, v11, v13
	v_sub_f16_e32 v1, v1, v9
	v_pack_b32_f16 v12, v12, v15
	v_sub_f16_e32 v15, v10, v14
	v_add_f16_e32 v10, v14, v10
	v_add_f16_e32 v2, v2, v8
	v_sub_f16_e32 v9, v34, v46
	v_add_f16_e32 v14, v30, v38
	v_pack_b32_f16 v15, v15, v39
	v_pack_b32_f16 v8, v10, v11
	;; [unrolled: 1-line block ×3, first 2 shown]
	v_add_f16_e32 v10, v36, v44
	v_sub_f16_e32 v2, v29, v47
	ds_store_2addr_b32 v216, v12, v15 offset0:103 offset1:152
	v_add_f16_e32 v12, v35, v45
	ds_store_2addr_b32 v216, v8, v1 offset0:201 offset1:250
	v_add_f16_e32 v1, v29, v47
	v_add_f16_e32 v8, v34, v46
	v_sub_f16_e32 v15, v38, v30
	v_add_f16_e32 v29, v32, v37
	v_sub_f16_e32 v30, v37, v32
	v_add_f16_e32 v32, v10, v1
	v_add_f16_e32 v34, v12, v8
	v_sub_f16_e32 v13, v35, v45
	v_lshrrev_b32_e32 v35, 16, v134
	v_sub_f16_e32 v11, v36, v44
	v_add_f16_e32 v32, v14, v32
	v_add_f16_e32 v34, v29, v34
	;; [unrolled: 1-line block ×3, first 2 shown]
	v_sub_f16_e32 v45, v30, v13
	v_sub_f16_e32 v39, v15, v11
	v_add_f16_e64 v36, v32, v134
	v_add_f16_e32 v35, v34, v35
	v_sub_f16_e32 v30, v9, v30
	v_add_f16_e32 v44, v44, v9
	v_mul_f16_e32 v39, 0x3846, v39
	v_and_b32_e32 v38, 0xffff, v36
	v_lshlrev_b32_e32 v37, 16, v35
	v_fmac_f16_e32 v36, 0xbcab, v32
	v_fmac_f16_e32 v35, 0xbcab, v34
	v_sub_f16_e32 v32, v1, v14
	v_sub_f16_e32 v14, v14, v10
	v_or_b32_e32 v37, v37, v38
	v_add_f16_e32 v38, v15, v11
	v_sub_f16_e32 v34, v8, v29
	v_sub_f16_e32 v29, v29, v12
	v_sub_f16_e32 v15, v2, v15
	v_mul_f16_e32 v45, 0x3846, v45
	v_add_f16_e32 v38, v38, v2
	v_sub_f16_e32 v2, v11, v2
	v_sub_f16_e32 v9, v13, v9
	v_mul_f16_e32 v32, 0x3a52, v32
	v_mul_f16_e32 v34, 0x3a52, v34
	v_sub_f16_e32 v1, v10, v1
	v_sub_f16_e32 v8, v12, v8
	v_mul_f16_e32 v10, 0x2b26, v14
	v_mul_f16_e32 v11, 0x2b26, v29
	v_fma_f16 v12, v2, 0xbb00, -v39
	v_mul_f16_e32 v2, 0x3b00, v2
	v_fma_f16 v13, v9, 0xbb00, -v45
	;; [unrolled: 2-line block ×3, first 2 shown]
	v_fma_f16 v1, v1, 0xb9e0, -v32
	v_fma_f16 v11, v8, 0x39e0, -v11
	;; [unrolled: 1-line block ×3, first 2 shown]
	v_fmac_f16_e32 v2, 0x3574, v15
	v_fmac_f16_e32 v9, 0x3574, v30
	v_fmamk_f16 v59, v48, 0x2b26, v52
	v_fmamk_f16 v80, v49, 0xb574, v57
	;; [unrolled: 1-line block ×6, first 2 shown]
	v_add_f16_e32 v1, v1, v36
	v_add_f16_e32 v8, v8, v35
	v_fmac_f16_e32 v2, 0xb70e, v38
	v_fmac_f16_e32 v9, 0xb70e, v44
	v_add_f16_e32 v46, v46, v36
	v_add_f16_e32 v47, v47, v35
	v_fmac_f16_e32 v48, 0xb70e, v44
	v_fmac_f16_e32 v49, 0xb70e, v38
	v_add_f16_e32 v14, v9, v1
	v_sub_f16_e32 v15, v8, v2
	v_sub_f16_e32 v1, v1, v9
	v_add_f16_e32 v2, v2, v8
	v_add_f16_e32 v59, v59, v51
	;; [unrolled: 1-line block ×3, first 2 shown]
	v_sub_f16_e32 v51, v47, v49
	v_add_f16_e32 v10, v10, v36
	v_pack_b32_f16 v1, v1, v2
	scratch_load_b32 v2, off, off offset:408 ; 4-byte Folded Reload
	v_add_f16_e32 v11, v11, v35
	v_pack_b32_f16 v50, v50, v51
	scratch_load_b32 v51, off, off offset:412 ; 4-byte Folded Reload
	v_fmac_f16_e32 v12, 0xb70e, v38
	v_fmac_f16_e32 v13, 0xb70e, v44
	v_pack_b32_f16 v14, v14, v15
	v_sub_f16_e32 v9, v25, v43
	v_fmac_f16_e32 v80, 0xb70e, v56
	v_add_f16_e32 v29, v12, v11
	v_sub_f16_e32 v15, v10, v13
	v_add_f16_e32 v10, v13, v10
	v_sub_f16_e32 v11, v11, v12
	;; [unrolled: 2-line block ×3, first 2 shown]
	v_pack_b32_f16 v15, v15, v29
	v_fmac_f16_e32 v81, 0xb70e, v54
	v_pack_b32_f16 v8, v10, v11
	v_add_f16_e32 v10, v19, v42
	v_sub_f16_e32 v11, v19, v42
	v_add_f16_e32 v19, v22, v24
	v_add_f16_e32 v82, v80, v58
	v_sub_f16_e32 v83, v59, v81
	s_waitcnt vmcnt(2)
	ds_store_2addr_b32 v96, v86, v95 offset0:174 offset1:223
	v_lshrrev_b32_e32 v52, 16, v242
	v_lshrrev_b32_e32 v54, 16, v243
	;; [unrolled: 1-line block ×3, first 2 shown]
	v_pack_b32_f16 v82, v82, v83
	ds_store_2addr_b32 v216, v53, v82 offset0:5 offset1:54
	s_waitcnt vmcnt(1)
	ds_store_2addr_b32 v2, v8, v1 offset0:32 offset1:81
	v_add_f16_e32 v1, v26, v40
	v_add_f16_e32 v8, v25, v43
	s_waitcnt vmcnt(0)
	ds_store_2addr_b32 v51, v14, v15 offset0:190 offset1:239
	v_add_f16_e32 v14, v23, v20
	v_sub_f16_e32 v15, v20, v23
	v_sub_f16_e32 v20, v24, v22
	v_add_f16_e32 v21, v10, v1
	v_add_f16_e32 v24, v12, v8
	v_lshrrev_b32_e32 v22, 16, v135
	v_sub_f16_e32 v2, v26, v40
	v_sub_f16_e32 v29, v15, v11
	v_add_f16_e32 v21, v14, v21
	v_add_f16_e32 v24, v19, v24
	;; [unrolled: 1-line block ×3, first 2 shown]
	v_sub_f16_e32 v32, v20, v13
	v_sub_f16_e32 v20, v9, v20
	v_add_f16_e64 v23, v21, v135
	v_add_f16_e32 v22, v24, v22
	v_add_f16_e32 v30, v30, v9
	v_mul_f16_e32 v29, 0x3846, v29
	v_mul_f16_e32 v32, 0x3846, v32
	v_and_b32_e32 v26, 0xffff, v23
	v_lshlrev_b32_e32 v25, 16, v22
	v_fmac_f16_e32 v23, 0xbcab, v21
	v_fmac_f16_e32 v22, 0xbcab, v24
	v_sub_f16_e32 v21, v1, v14
	v_sub_f16_e32 v14, v14, v10
	v_or_b32_e32 v25, v25, v26
	v_add_f16_e32 v26, v15, v11
	v_sub_f16_e32 v24, v8, v19
	v_sub_f16_e32 v19, v19, v12
	;; [unrolled: 1-line block ×4, first 2 shown]
	v_add_f16_e32 v26, v26, v2
	v_sub_f16_e32 v2, v11, v2
	v_mul_f16_e32 v21, 0x3a52, v21
	v_mul_f16_e32 v24, 0x3a52, v24
	v_sub_f16_e32 v1, v10, v1
	v_sub_f16_e32 v8, v12, v8
	v_mul_f16_e32 v10, 0x2b26, v14
	v_mul_f16_e32 v11, 0x2b26, v19
	v_fma_f16 v12, v2, 0xbb00, -v29
	v_mul_f16_e32 v2, 0x3b00, v2
	v_fma_f16 v13, v9, 0xbb00, -v32
	;; [unrolled: 2-line block ×3, first 2 shown]
	v_fma_f16 v1, v1, 0xb9e0, -v21
	v_fma_f16 v11, v8, 0x39e0, -v11
	;; [unrolled: 1-line block ×3, first 2 shown]
	v_fmac_f16_e32 v2, 0x3574, v15
	v_fmac_f16_e32 v9, 0x3574, v20
	v_add_f16_e32 v1, v1, v23
	ds_store_2addr_b32 v51, v37, v50 offset0:92 offset1:141
	v_add_f16_e32 v8, v8, v22
	v_fmac_f16_e32 v2, 0xb70e, v26
	v_fmac_f16_e32 v9, 0xb70e, v30
	v_fmamk_f16 v34, v14, 0x2b26, v21
	v_fmamk_f16 v37, v15, 0xb574, v29
	v_add_f16_e32 v10, v10, v23
	v_add_f16_e32 v11, v11, v22
	v_fmac_f16_e32 v12, 0xb70e, v26
	v_fmac_f16_e32 v13, 0xb70e, v30
	v_add_f16_e32 v14, v9, v1
	v_sub_f16_e32 v15, v8, v2
	v_fmamk_f16 v35, v19, 0x2b26, v24
	v_add_f16_e32 v19, v12, v11
	v_sub_f16_e32 v11, v11, v12
	v_sub_f16_e32 v1, v1, v9
	v_pack_b32_f16 v14, v14, v15
	v_sub_f16_e32 v15, v10, v13
	v_add_f16_e32 v10, v13, v10
	v_add_f16_e32 v2, v2, v8
	;; [unrolled: 1-line block ×4, first 2 shown]
	v_pack_b32_f16 v15, v15, v19
	scratch_load_b32 v19, off, off offset:420 ; 4-byte Folded Reload
	v_pack_b32_f16 v8, v10, v11
	v_pack_b32_f16 v1, v1, v2
	v_sub_f16_e32 v2, v3, v31
	v_add_f16_e32 v10, v7, v28
	v_add_f16_e32 v11, v5, v18
	v_sub_f16_e32 v4, v4, v27
	v_sub_f16_e32 v5, v18, v5
	;; [unrolled: 1-line block ×4, first 2 shown]
	v_fmamk_f16 v36, v20, 0xb574, v32
	v_add_f16_e32 v34, v34, v23
	v_sub_f16_e32 v18, v5, v4
	v_add_f16_e32 v35, v35, v22
	v_sub_f16_e32 v20, v6, v7
	v_fmac_f16_e32 v36, 0xb70e, v30
	v_fmac_f16_e32 v37, 0xb70e, v26
	v_mul_f16_e32 v18, 0x3846, v18
	s_delay_alu instid0(VALU_DEP_4) | instskip(NEXT) | instid1(VALU_DEP_4)
	v_mul_f16_e32 v20, 0x3846, v20
	v_add_f16_e32 v38, v36, v34
	s_delay_alu instid0(VALU_DEP_4) | instskip(NEXT) | instid1(VALU_DEP_1)
	v_sub_f16_e32 v39, v35, v37
	v_pack_b32_f16 v38, v38, v39
	scratch_load_b32 v39, off, off offset:416 ; 4-byte Folded Reload
	s_waitcnt vmcnt(1)
	ds_store_2addr_b32 v19, v8, v1 offset0:119 offset1:168
	v_add_f16_e32 v1, v3, v31
	v_add_f16_e32 v3, v16, v33
	ds_store_2addr_b32 v19, v14, v15 offset0:21 offset1:70
	v_lshrrev_b32_e32 v14, 16, v0
	v_sub_f16_e32 v8, v16, v33
	v_add_f16_e32 v13, v9, v1
	v_add_f16_e32 v15, v10, v3
	;; [unrolled: 1-line block ×3, first 2 shown]
	s_delay_alu instid0(VALU_DEP_4) | instskip(NEXT) | instid1(VALU_DEP_4)
	v_sub_f16_e32 v6, v8, v6
	v_add_f16_e32 v13, v11, v13
	s_delay_alu instid0(VALU_DEP_4) | instskip(NEXT) | instid1(VALU_DEP_4)
	v_add_f16_e32 v15, v12, v15
	v_add_f16_e32 v19, v19, v8
	s_delay_alu instid0(VALU_DEP_4) | instskip(NEXT) | instid1(VALU_DEP_4)
	v_fmamk_f16 v23, v6, 0xb574, v20
	v_add_f16_e32 v0, v13, v0
	s_delay_alu instid0(VALU_DEP_4) | instskip(NEXT) | instid1(VALU_DEP_3)
	v_add_f16_e32 v14, v15, v14
	v_fmac_f16_e32 v23, 0xb70e, v19
	s_delay_alu instid0(VALU_DEP_3) | instskip(NEXT) | instid1(VALU_DEP_3)
	v_and_b32_e32 v17, 0xffff, v0
	v_lshlrev_b32_e32 v16, 16, v14
	v_fmac_f16_e32 v0, 0xbcab, v13
	v_fmac_f16_e32 v14, 0xbcab, v15
	v_sub_f16_e32 v13, v1, v11
	v_sub_f16_e32 v11, v11, v9
	v_or_b32_e32 v16, v16, v17
	v_add_f16_e32 v17, v5, v4
	v_sub_f16_e32 v5, v2, v5
	v_sub_f16_e32 v15, v3, v12
	;; [unrolled: 1-line block ×4, first 2 shown]
	v_add_f16_e32 v17, v17, v2
	v_sub_f16_e32 v2, v4, v2
	v_sub_f16_e32 v4, v7, v8
	v_mul_f16_e32 v13, 0x3a52, v13
	v_mul_f16_e32 v15, 0x3a52, v15
	v_fmamk_f16 v24, v5, 0xb574, v18
	v_fma_f16 v9, v2, 0xbb00, -v18
	v_mul_f16_e32 v2, 0x3b00, v2
	v_sub_f16_e32 v3, v10, v3
	v_mul_f16_e32 v7, 0x2b26, v11
	v_mul_f16_e32 v8, 0x2b26, v12
	v_fmamk_f16 v21, v11, 0x2b26, v13
	v_fmac_f16_e32 v2, 0x3574, v5
	v_fma_f16 v5, v4, 0xbb00, -v20
	v_mul_f16_e32 v4, 0x3b00, v4
	v_fma_f16 v7, v1, 0x39e0, -v7
	v_fma_f16 v1, v1, 0xb9e0, -v13
	;; [unrolled: 1-line block ×4, first 2 shown]
	v_fmac_f16_e32 v4, 0x3574, v6
	v_add_f16_e32 v21, v21, v0
	v_add_f16_e32 v6, v7, v0
	v_add_f16_e32 v0, v1, v0
	v_add_f16_e32 v3, v3, v14
	v_fmac_f16_e32 v2, 0xb70e, v17
	v_fmac_f16_e32 v4, 0xb70e, v19
	v_add_f16_e32 v1, v8, v14
	v_fmac_f16_e32 v9, 0xb70e, v17
	v_fmac_f16_e32 v5, 0xb70e, v19
	v_sub_f16_e32 v8, v3, v2
	v_add_f16_e32 v7, v4, v0
	v_sub_f16_e32 v0, v0, v4
	v_add_f16_e32 v10, v9, v1
	;; [unrolled: 2-line block ×3, first 2 shown]
	v_pack_b32_f16 v7, v7, v8
	v_sub_f16_e32 v8, v6, v5
	v_add_f16_e32 v5, v5, v6
	v_add_f16_e32 v3, v81, v59
	v_pack_b32_f16 v0, v0, v2
	v_sub_f16_e32 v2, v58, v80
	v_fmamk_f16 v22, v12, 0x2b26, v15
	v_pack_b32_f16 v1, v5, v1
	v_fmac_f16_e32 v24, 0xb70e, v17
	s_waitcnt vmcnt(0)
	ds_store_2addr_b32 v39, v25, v38 offset0:179 offset1:228
	v_add_f16_e32 v25, v23, v21
	v_add_f16_e32 v22, v22, v14
	ds_store_2addr_b32 v185, v1, v0 offset0:206 offset1:255
	v_sub_f16_e32 v0, v91, v93
	v_add_f16_e32 v1, v94, v92
	v_pack_b32_f16 v8, v8, v10
	v_sub_f16_e32 v26, v22, v24
	v_lshrrev_b32_e32 v4, 16, v152
	v_lshrrev_b32_e32 v6, 16, v153
	v_pack_b32_f16 v0, v0, v1
	v_pack_b32_f16 v1, v2, v3
	scratch_load_b32 v2, off, off offset:440 ; 4-byte Folded Reload
	v_pack_b32_f16 v25, v25, v26
	ds_store_2addr_b32 v185, v7, v8 offset0:108 offset1:157
	v_lshrrev_b32_e32 v8, 16, v154
	v_lshrrev_b32_e32 v10, 16, v155
	ds_store_2addr_b32 v185, v16, v25 offset0:10 offset1:59
	s_waitcnt vmcnt(0)
	ds_store_b32 v2, v0 offset:3920
	v_sub_f16_e32 v0, v46, v48
	v_add_f16_e32 v2, v49, v47
	s_delay_alu instid0(VALU_DEP_1)
	v_pack_b32_f16 v0, v0, v2
	scratch_load_b32 v2, off, off offset:436 ; 4-byte Folded Reload
	s_waitcnt vmcnt(0)
	ds_store_b32 v2, v1 offset:5292
	v_sub_f16_e32 v1, v34, v36
	v_add_f16_e32 v2, v37, v35
	s_delay_alu instid0(VALU_DEP_1)
	v_pack_b32_f16 v1, v1, v2
	scratch_load_b32 v2, off, off offset:432 ; 4-byte Folded Reload
	;; [unrolled: 7-line block ×3, first 2 shown]
	s_waitcnt vmcnt(0)
	ds_store_b32 v2, v1 offset:8036
	scratch_load_b32 v1, off, off offset:428 ; 4-byte Folded Reload
	s_waitcnt vmcnt(0)
	ds_store_b32 v1, v0 offset:9408
	s_waitcnt lgkmcnt(0)
	s_barrier
	buffer_gl0_inv
	ds_load_2addr_b32 v[0:1], v253 offset0:38 offset1:87
	ds_load_2addr_b32 v[16:17], v158 offset0:122 offset1:171
	s_waitcnt lgkmcnt(1)
	v_lshrrev_b32_e32 v2, 16, v1
	v_mul_f16_e32 v3, v4, v1
	s_waitcnt lgkmcnt(0)
	v_mul_f16_e64 v13, v165, v16
	v_lshrrev_b32_e32 v20, 16, v17
	v_mul_f16_e64 v21, v231, v17
	v_mul_f16_e32 v80, v4, v2
	v_fma_f16 v81, v152, v2, -v3
	ds_load_2addr_b32 v[2:3], v181 offset0:174 offset1:223
	v_mul_f16_e64 v14, v231, v20
	v_fmac_f16_e64 v80, v152, v1
	v_lshrrev_b32_e32 v1, 16, v192
	s_delay_alu instid0(VALU_DEP_3) | instskip(SKIP_3) | instid1(VALU_DEP_2)
	v_fmac_f16_e32 v14, v78, v17
	s_waitcnt lgkmcnt(0)
	v_lshrrev_b32_e32 v4, 16, v2
	v_mul_f16_e32 v5, v6, v2
	v_mul_f16_e32 v82, v6, v4
	s_delay_alu instid0(VALU_DEP_2)
	v_fma_f16 v83, v153, v4, -v5
	ds_load_2addr_b32 v[4:5], v159 offset0:84 offset1:133
	v_fmac_f16_e64 v82, v153, v2
	s_waitcnt lgkmcnt(0)
	v_lshrrev_b32_e32 v6, 16, v5
	v_mul_f16_e32 v7, v8, v5
	s_delay_alu instid0(VALU_DEP_2) | instskip(NEXT) | instid1(VALU_DEP_2)
	v_mul_f16_e32 v84, v8, v6
	v_fma_f16 v85, v154, v6, -v7
	ds_load_2addr_b32 v[6:7], v222 offset0:92 offset1:141
	v_fmac_f16_e64 v84, v154, v5
	v_lshrrev_b32_e32 v5, 16, v3
	s_delay_alu instid0(VALU_DEP_1) | instskip(NEXT) | instid1(VALU_DEP_1)
	v_mul_f16_e32 v22, v1, v5
	v_fmac_f16_e64 v22, v192, v3
	v_mul_f16_e32 v3, v1, v3
	v_lshrrev_b32_e32 v1, 16, v194
	s_waitcnt lgkmcnt(0)
	v_lshrrev_b32_e32 v8, 16, v6
	v_mul_f16_e32 v9, v10, v6
	v_fma_f16 v32, v192, v5, -v3
	s_delay_alu instid0(VALU_DEP_3) | instskip(NEXT) | instid1(VALU_DEP_3)
	v_mul_f16_e32 v86, v10, v8
	v_fma_f16 v87, v155, v8, -v9
	v_lshrrev_b32_e32 v8, 16, v7
	v_lshrrev_b32_e32 v10, 16, v191
	s_delay_alu instid0(VALU_DEP_4) | instskip(NEXT) | instid1(VALU_DEP_3)
	v_fmac_f16_e64 v86, v155, v6
	v_mul_f16_e32 v30, v1, v8
	s_delay_alu instid0(VALU_DEP_1)
	v_fmac_f16_e64 v30, v194, v7
	v_mul_f16_e32 v7, v1, v7
	ds_load_2addr_b32 v[1:2], v253 offset0:136 offset1:185
	v_fma_f16 v40, v194, v8, -v7
	v_lshrrev_b32_e32 v8, 16, v61
	s_waitcnt lgkmcnt(0)
	v_lshrrev_b32_e32 v6, 16, v1
	v_mul_f16_e32 v9, v10, v1
	s_delay_alu instid0(VALU_DEP_2) | instskip(NEXT) | instid1(VALU_DEP_2)
	v_mul_f16_e32 v34, v10, v6
	v_fma_f16 v35, v191, v6, -v9
	ds_load_2addr_b32 v[5:6], v207 offset0:54 offset1:103
	v_lshrrev_b32_e32 v10, 16, v193
	v_fmac_f16_e64 v34, v191, v1
	v_lshrrev_b32_e32 v1, 16, v2
	s_waitcnt lgkmcnt(0)
	v_lshrrev_b32_e32 v3, 16, v5
	v_mul_f16_e32 v9, v10, v5
	s_delay_alu instid0(VALU_DEP_2) | instskip(NEXT) | instid1(VALU_DEP_2)
	v_mul_f16_e32 v37, v10, v3
	v_fma_f16 v38, v193, v3, -v9
	v_lshrrev_b32_e32 v3, 16, v60
	s_delay_alu instid0(VALU_DEP_3) | instskip(SKIP_1) | instid1(VALU_DEP_3)
	v_fmac_f16_e64 v37, v193, v5
	v_lshrrev_b32_e32 v5, 16, v62
	v_mul_f16_e32 v44, v3, v1
	s_delay_alu instid0(VALU_DEP_1) | instskip(SKIP_2) | instid1(VALU_DEP_2)
	v_fmac_f16_e32 v44, v60, v2
	v_mul_f16_e32 v2, v3, v2
	v_lshrrev_b32_e32 v3, 16, v6
	v_fma_f16 v47, v60, v1, -v2
	ds_load_2addr_b32 v[1:2], v196 offset0:16 offset1:65
	v_mul_f16_e32 v45, v5, v3
	v_mul_f16_e32 v5, v5, v6
	s_delay_alu instid0(VALU_DEP_2) | instskip(NEXT) | instid1(VALU_DEP_2)
	v_fmac_f16_e32 v45, v62, v6
	v_fma_f16 v46, v62, v3, -v5
	s_waitcnt lgkmcnt(0)
	v_lshrrev_b32_e32 v6, 16, v1
	v_mul_f16_e32 v7, v8, v1
	s_delay_alu instid0(VALU_DEP_2) | instskip(NEXT) | instid1(VALU_DEP_2)
	v_mul_f16_e32 v49, v8, v6
	v_fma_f16 v48, v61, v6, -v7
	ds_load_2addr_b32 v[5:6], v222 offset0:190 offset1:239
	v_lshrrev_b32_e32 v8, 16, v63
	v_fmac_f16_e32 v49, v61, v1
	s_waitcnt lgkmcnt(0)
	v_lshrrev_b32_e32 v3, 16, v5
	s_delay_alu instid0(VALU_DEP_3) | instskip(NEXT) | instid1(VALU_DEP_2)
	v_mul_f16_e32 v7, v8, v5
	v_mul_f16_e32 v51, v8, v3
	s_delay_alu instid0(VALU_DEP_2)
	v_fma_f16 v50, v63, v3, -v7
	v_lshrrev_b32_e32 v3, 16, v2
	v_lshrrev_b32_e32 v7, 16, v6
	v_mul_f16_e64 v8, v223, v6
	v_fmac_f16_e32 v51, v63, v5
	v_mul_f16_e64 v5, v221, v2
	v_mul_f16_e64 v15, v221, v3
	;; [unrolled: 1-line block ×3, first 2 shown]
	v_fma_f16 v26, v67, v7, -v8
	s_delay_alu instid0(VALU_DEP_4) | instskip(NEXT) | instid1(VALU_DEP_4)
	v_fma_f16 v23, v65, v3, -v5
	v_fmac_f16_e32 v15, v65, v2
	ds_load_2addr_b32 v[1:2], v238 offset0:106 offset1:155
	v_fmac_f16_e32 v19, v67, v6
	s_waitcnt lgkmcnt(0)
	v_lshrrev_b32_e32 v6, 16, v1
	v_mul_f16_e64 v9, v220, v1
	s_delay_alu instid0(VALU_DEP_2) | instskip(NEXT) | instid1(VALU_DEP_2)
	v_mul_f16_e64 v29, v220, v6
	v_fma_f16 v27, v64, v6, -v9
	ds_load_2addr_b32 v[5:6], v207 offset0:152 offset1:201
	v_fmac_f16_e32 v29, v64, v1
	v_lshrrev_b32_e32 v1, 16, v2
	s_delay_alu instid0(VALU_DEP_1) | instskip(NEXT) | instid1(VALU_DEP_1)
	v_mul_f16_e64 v28, v211, v1
	v_fmac_f16_e32 v28, v68, v2
	v_mul_f16_e64 v2, v211, v2
	s_delay_alu instid0(VALU_DEP_1) | instskip(SKIP_4) | instid1(VALU_DEP_2)
	v_fma_f16 v36, v68, v1, -v2
	ds_load_2addr_b32 v[1:2], v196 offset0:114 offset1:163
	s_waitcnt lgkmcnt(1)
	v_lshrrev_b32_e32 v3, 16, v5
	v_mul_f16_e64 v9, v218, v5
	v_mul_f16_e64 v25, v218, v3
	s_delay_alu instid0(VALU_DEP_2) | instskip(SKIP_1) | instid1(VALU_DEP_3)
	v_fma_f16 v24, v66, v3, -v9
	v_lshrrev_b32_e32 v3, 16, v6
	v_fmac_f16_e32 v25, v66, v5
	v_mul_f16_e64 v5, v217, v6
	s_delay_alu instid0(VALU_DEP_3) | instskip(NEXT) | instid1(VALU_DEP_2)
	v_mul_f16_e64 v31, v217, v3
	v_fma_f16 v33, v70, v3, -v5
	s_delay_alu instid0(VALU_DEP_2) | instskip(SKIP_4) | instid1(VALU_DEP_3)
	v_fmac_f16_e32 v31, v70, v6
	s_waitcnt lgkmcnt(0)
	v_lshrrev_b32_e32 v6, 16, v1
	v_mul_f16_e64 v7, v209, v1
	v_mul_f16_e64 v8, v167, v2
	v_mul_f16_e64 v41, v209, v6
	s_delay_alu instid0(VALU_DEP_3)
	v_fma_f16 v39, v69, v6, -v7
	ds_load_2addr_b32 v[5:6], v195 offset0:32 offset1:81
	v_fmac_f16_e32 v41, v69, v1
	s_waitcnt lgkmcnt(0)
	v_lshrrev_b32_e32 v3, 16, v5
	v_mul_f16_e64 v7, v208, v5
	v_lshrrev_b32_e32 v9, 16, v6
	v_mul_f16_e64 v11, v172, v6
	s_delay_alu instid0(VALU_DEP_4) | instskip(NEXT) | instid1(VALU_DEP_4)
	v_mul_f16_e64 v43, v208, v3
	v_fma_f16 v42, v71, v3, -v7
	v_lshrrev_b32_e32 v7, 16, v2
	s_delay_alu instid0(VALU_DEP_3) | instskip(SKIP_1) | instid1(VALU_DEP_3)
	v_fmac_f16_e32 v43, v71, v5
	v_mul_f16_e64 v5, v172, v9
	v_mul_f16_e64 v1, v167, v7
	v_fma_f16 v9, v75, v9, -v11
	v_add_f16_e32 v106, v33, v42
	v_add_f16_e32 v104, v31, v43
	v_fmac_f16_e32 v5, v75, v6
	v_fmac_f16_e32 v1, v73, v2
	ds_load_2addr_b32 v[2:3], v181 offset0:76 offset1:125
	v_sub_f16_e32 v103, v43, v31
	v_sub_f16_e32 v105, v42, v33
	s_waitcnt lgkmcnt(0)
	v_lshrrev_b32_e32 v6, 16, v2
	v_mul_f16_e64 v10, v166, v2
	s_delay_alu instid0(VALU_DEP_2) | instskip(NEXT) | instid1(VALU_DEP_2)
	v_mul_f16_e64 v12, v166, v6
	v_fma_f16 v10, v72, v6, -v10
	v_fma_f16 v6, v73, v7, -v8
	v_lshrrev_b32_e32 v7, 16, v16
	s_delay_alu instid0(VALU_DEP_4) | instskip(SKIP_1) | instid1(VALU_DEP_3)
	v_fmac_f16_e32 v12, v72, v2
	v_lshrrev_b32_e32 v2, 16, v3
	v_mul_f16_e64 v8, v165, v7
	v_fma_f16 v7, v74, v7, -v13
	s_delay_alu instid0(VALU_DEP_3) | instskip(NEXT) | instid1(VALU_DEP_3)
	v_mul_f16_e64 v11, v160, v2
	v_fmac_f16_e32 v8, v74, v16
	v_lshrrev_b32_e32 v16, 16, v4
	s_delay_alu instid0(VALU_DEP_4) | instskip(NEXT) | instid1(VALU_DEP_4)
	v_add_f16_e64 v135, v7, v9
	v_fmac_f16_e32 v11, v76, v3
	v_mul_f16_e64 v3, v160, v3
	v_sub_f16_e64 v133, v5, v8
	v_mul_f16_e64 v13, v230, v16
	v_sub_f16_e64 v137, v9, v7
	s_delay_alu instid0(VALU_DEP_4) | instskip(SKIP_3) | instid1(VALU_DEP_1)
	v_fma_f16 v18, v76, v2, -v3
	ds_load_2addr_b32 v[2:3], v195 offset0:130 offset1:179
	v_fmac_f16_e32 v13, v77, v4
	v_mul_f16_e64 v4, v230, v4
	v_fma_f16 v17, v77, v16, -v4
	v_fma_f16 v16, v78, v20, -v21
	s_waitcnt lgkmcnt(0)
	v_lshrrev_b32_e32 v4, 16, v2
	v_mul_f16_e64 v21, v163, v2
	s_delay_alu instid0(VALU_DEP_2) | instskip(NEXT) | instid1(VALU_DEP_2)
	v_mul_f16_e64 v20, v163, v4
	v_fma_f16 v21, v79, v4, -v21
	s_delay_alu instid0(VALU_DEP_2) | instskip(SKIP_1) | instid1(VALU_DEP_3)
	v_fmac_f16_e32 v20, v79, v2
	v_lshrrev_b32_e32 v2, 16, v3
	v_add_f16_e64 v138, v16, v21
	v_sub_f16_e64 v142, v21, v16
	s_delay_alu instid0(VALU_DEP_4) | instskip(NEXT) | instid1(VALU_DEP_4)
	v_sub_f16_e64 v139, v20, v14
	v_mul_f16_e32 v4, v52, v2
	v_mul_f16_e32 v52, v52, v3
	s_delay_alu instid0(VALU_DEP_2) | instskip(NEXT) | instid1(VALU_DEP_2)
	v_fmac_f16_e64 v4, v242, v3
	v_fma_f16 v76, v242, v2, -v52
	ds_load_2addr_b32 v[2:3], v186 offset0:10 offset1:59
	v_add_f16_e32 v79, v82, v4
	v_sub_f16_e32 v4, v82, v4
	v_sub_f16_e32 v82, v86, v84
	s_delay_alu instid0(VALU_DEP_1) | instskip(SKIP_3) | instid1(VALU_DEP_2)
	v_sub_f16_e32 v89, v82, v4
	s_waitcnt lgkmcnt(0)
	v_lshrrev_b32_e32 v52, 16, v2
	v_mul_f16_e32 v53, v54, v2
	v_mul_f16_e32 v77, v54, v52
	s_delay_alu instid0(VALU_DEP_2) | instskip(SKIP_1) | instid1(VALU_DEP_3)
	v_fma_f16 v78, v243, v52, -v53
	v_lshrrev_b32_e32 v52, 16, v3
	v_fmac_f16_e64 v77, v243, v2
	v_lshrrev_b32_e32 v2, 16, v248
	s_delay_alu instid0(VALU_DEP_1) | instskip(SKIP_1) | instid1(VALU_DEP_2)
	v_mul_f16_e32 v68, v2, v52
	v_mul_f16_e32 v53, v2, v3
	v_fmac_f16_e64 v68, v248, v3
	ds_load_2addr_b32 v[2:3], v250 offset0:100 offset1:149
	v_fma_f16 v73, v248, v52, -v53
	v_lshrrev_b32_e32 v52, 16, v113
	s_waitcnt lgkmcnt(0)
	v_lshrrev_b32_e32 v54, 16, v2
	v_mul_f16_e32 v55, v56, v2
	s_delay_alu instid0(VALU_DEP_2) | instskip(NEXT) | instid1(VALU_DEP_2)
	v_mul_f16_e32 v70, v56, v54
	v_fma_f16 v71, v247, v54, -v55
	v_lshrrev_b32_e32 v54, 16, v114
	v_lshrrev_b32_e32 v56, 16, v115
	s_delay_alu instid0(VALU_DEP_4) | instskip(SKIP_1) | instid1(VALU_DEP_1)
	v_fmac_f16_e64 v70, v247, v2
	v_lshrrev_b32_e32 v2, 16, v3
	v_mul_f16_e32 v69, v52, v2
	v_mul_f16_e32 v52, v52, v3
	s_delay_alu instid0(VALU_DEP_2) | instskip(NEXT) | instid1(VALU_DEP_2)
	v_fmac_f16_e32 v69, v113, v3
	v_fma_f16 v72, v113, v2, -v52
	ds_load_2addr_b32 v[2:3], v186 offset0:108 offset1:157
	s_waitcnt lgkmcnt(0)
	v_lshrrev_b32_e32 v52, 16, v2
	v_mul_f16_e32 v53, v54, v2
	s_delay_alu instid0(VALU_DEP_2) | instskip(NEXT) | instid1(VALU_DEP_2)
	v_mul_f16_e32 v74, v54, v52
	v_fma_f16 v75, v114, v52, -v53
	v_lshrrev_b32_e32 v52, 16, v3
	s_delay_alu instid0(VALU_DEP_3) | instskip(SKIP_1) | instid1(VALU_DEP_1)
	v_fmac_f16_e32 v74, v114, v2
	v_lshrrev_b32_e32 v2, 16, v116
	v_mul_f16_e32 v62, v2, v52
	v_mul_f16_e32 v53, v2, v3
	s_delay_alu instid0(VALU_DEP_2)
	v_fmac_f16_e32 v62, v116, v3
	ds_load_2addr_b32 v[2:3], v176 offset0:70 offset1:119
	v_fma_f16 v67, v116, v52, -v53
	v_lshrrev_b32_e32 v52, 16, v117
	s_waitcnt lgkmcnt(0)
	v_lshrrev_b32_e32 v54, 16, v2
	v_mul_f16_e32 v55, v56, v2
	s_delay_alu instid0(VALU_DEP_2) | instskip(NEXT) | instid1(VALU_DEP_2)
	v_mul_f16_e32 v66, v56, v54
	v_fma_f16 v65, v115, v54, -v55
	v_lshrrev_b32_e32 v54, 16, v118
	s_delay_alu instid0(VALU_DEP_3) | instskip(SKIP_1) | instid1(VALU_DEP_4)
	v_fmac_f16_e32 v66, v115, v2
	v_lshrrev_b32_e32 v2, 16, v3
	v_add_f16_e32 v112, v23, v65
	v_sub_f16_e32 v113, v23, v65
	v_sub_f16_e32 v65, v19, v25
	v_add_f16_e32 v109, v15, v66
	v_mul_f16_e32 v60, v52, v2
	v_mul_f16_e32 v52, v52, v3
	v_sub_f16_e32 v110, v15, v66
	v_add_f16_e32 v66, v25, v19
	s_delay_alu instid0(VALU_DEP_4) | instskip(NEXT) | instid1(VALU_DEP_4)
	v_fmac_f16_e32 v60, v117, v3
	v_fma_f16 v61, v117, v2, -v52
	ds_load_2addr_b32 v[2:3], v186 offset0:206 offset1:255
	v_sub_f16_e32 v111, v66, v109
	v_sub_f16_e32 v31, v65, v110
	v_add_f16_e32 v114, v41, v60
	v_add_f16_e32 v116, v39, v61
	v_sub_f16_e32 v115, v41, v60
	s_delay_alu instid0(VALU_DEP_4) | instskip(NEXT) | instid1(VALU_DEP_4)
	v_mul_f16_e32 v126, 0x3846, v31
	v_sub_f16_e64 v130, v104, v114
	s_delay_alu instid0(VALU_DEP_4) | instskip(SKIP_3) | instid1(VALU_DEP_2)
	v_sub_f16_e64 v132, v106, v116
	s_waitcnt lgkmcnt(0)
	v_lshrrev_b32_e32 v52, 16, v2
	v_mul_f16_e32 v53, v54, v2
	v_mul_f16_e32 v63, v54, v52
	s_delay_alu instid0(VALU_DEP_2) | instskip(SKIP_2) | instid1(VALU_DEP_4)
	v_fma_f16 v64, v118, v52, -v53
	v_lshrrev_b32_e32 v52, 16, v3
	v_mul_f16_e64 v53, v206, v3
	v_fmac_f16_e32 v63, v118, v2
	s_delay_alu instid0(VALU_DEP_4) | instskip(NEXT) | instid1(VALU_DEP_4)
	v_add_f16_e32 v100, v36, v64
	v_mul_f16_e64 v54, v206, v52
	s_delay_alu instid0(VALU_DEP_4)
	v_fma_f16 v59, v120, v52, -v53
	v_sub_f16_e32 v64, v36, v64
	v_sub_f16_e32 v118, v39, v61
	v_mul_f16_e32 v39, 0x2b26, v111
	v_fmac_f16_e32 v54, v120, v3
	ds_load_2addr_b32 v[2:3], v176 offset0:168 offset1:217
	s_waitcnt lgkmcnt(0)
	v_lshrrev_b32_e32 v56, 16, v2
	v_mul_f16_e64 v57, v200, v2
	v_mul_f16_e64 v53, v187, v3
	s_delay_alu instid0(VALU_DEP_3) | instskip(NEXT) | instid1(VALU_DEP_3)
	v_mul_f16_e64 v55, v200, v56
	v_fma_f16 v56, v119, v56, -v57
	s_delay_alu instid0(VALU_DEP_2) | instskip(SKIP_2) | instid1(VALU_DEP_2)
	v_fmac_f16_e32 v55, v119, v2
	v_lshrrev_b32_e32 v2, 16, v3
	v_sub_f16_e32 v119, v116, v100
	v_mul_f16_e64 v52, v187, v2
	v_fma_f16 v53, v121, v2, -v53
	ds_load_b32 v2, v251 offset:9408
	v_fmac_f16_e32 v52, v121, v3
	s_delay_alu instid0(VALU_DEP_1) | instskip(NEXT) | instid1(VALU_DEP_1)
	v_sub_f16_e64 v128, v13, v52
	v_sub_f16_e64 v152, v139, v128
	s_waitcnt lgkmcnt(0)
	v_lshrrev_b32_e32 v3, 16, v2
	v_mul_f16_e64 v58, v198, v2
	s_delay_alu instid0(VALU_DEP_2) | instskip(NEXT) | instid1(VALU_DEP_2)
	v_mul_f16_e64 v57, v198, v3
	v_fma_f16 v58, v122, v3, -v58
	v_sub_f16_e32 v3, v80, v77
	s_delay_alu instid0(VALU_DEP_3)
	v_fmac_f16_e32 v57, v122, v2
	v_add_f16_e32 v2, v80, v77
	v_add_f16_e32 v77, v81, v78
	v_sub_f16_e32 v78, v81, v78
	v_add_f16_e32 v80, v83, v76
	v_sub_f16_e32 v76, v83, v76
	v_add_f16_e32 v81, v84, v86
	v_add_f16_e32 v83, v85, v87
	v_sub_f16_e32 v84, v87, v85
	v_add_f16_e32 v85, v79, v2
	v_sub_f16_e32 v86, v79, v2
	v_sub_f16_e32 v2, v2, v81
	;; [unrolled: 1-line block ×3, first 2 shown]
	v_add_f16_e32 v79, v80, v77
	v_add_f16_e32 v81, v81, v85
	v_sub_f16_e32 v85, v80, v77
	v_sub_f16_e32 v88, v77, v83
	v_add_f16_e32 v77, v82, v4
	v_sub_f16_e32 v82, v3, v82
	v_sub_f16_e32 v4, v4, v3
	;; [unrolled: 1-line block ×4, first 2 shown]
	v_add_f16_e32 v3, v77, v3
	v_add_f16_e32 v77, v84, v76
	v_sub_f16_e32 v84, v78, v84
	v_sub_f16_e32 v76, v76, v78
	v_add_f16_e32 v83, v83, v79
	v_mul_f16_e32 v2, 0x3a52, v2
	v_add_f16_e32 v91, v77, v78
	ds_load_2addr_b32 v[77:78], v251 offset1:49
	v_sub_f16_e32 v122, v118, v64
	v_sub_f16_e32 v127, v11, v57
	s_delay_alu instid0(VALU_DEP_1) | instskip(SKIP_3) | instid1(VALU_DEP_2)
	v_sub_f16_e64 v150, v127, v139
	s_waitcnt lgkmcnt(0)
	v_lshrrev_b32_e32 v79, 16, v77
	v_add_f16_e32 v77, v81, v77
	v_add_f16_e32 v92, v83, v79
	s_delay_alu instid0(VALU_DEP_2) | instskip(SKIP_2) | instid1(VALU_DEP_4)
	v_and_b32_e32 v93, 0xffff, v77
	v_fmac_f16_e32 v77, 0xbcab, v81
	v_mul_f16_e32 v81, 0x2b26, v87
	v_lshlrev_b32_e32 v79, 16, v92
	v_fmac_f16_e32 v92, 0xbcab, v83
	v_fmamk_f16 v83, v87, 0x2b26, v2
	s_delay_alu instid0(VALU_DEP_4)
	v_fma_f16 v81, v86, 0x39e0, -v81
	v_fma_f16 v2, v86, 0xb9e0, -v2
	v_mul_f16_e32 v86, 0x3a52, v88
	v_mul_f16_e32 v87, 0x2b26, v80
	;; [unrolled: 1-line block ×3, first 2 shown]
	v_or_b32_e32 v79, v79, v93
	v_add_f16_e32 v94, v83, v77
	v_fmamk_f16 v80, v80, 0x2b26, v86
	v_fma_f16 v87, v85, 0x39e0, -v87
	v_fma_f16 v85, v85, 0xb9e0, -v86
	v_mul_f16_e32 v86, 0x3846, v89
	v_fmac_f16_e32 v88, 0x3574, v82
	v_add_f16_e32 v81, v81, v77
	v_add_f16_e32 v2, v2, v77
	;; [unrolled: 1-line block ×3, first 2 shown]
	v_fma_f16 v4, v4, 0xbb00, -v86
	v_fmamk_f16 v93, v82, 0xb574, v86
	v_mul_f16_e32 v82, 0x3846, v90
	v_mul_f16_e32 v86, 0x3b00, v76
	v_add_f16_e32 v87, v85, v92
	v_fmac_f16_e32 v88, 0xb70e, v3
	v_add_f16_e32 v95, v80, v92
	v_fma_f16 v76, v76, 0xbb00, -v82
	v_fmamk_f16 v82, v84, 0xb574, v82
	v_fmac_f16_e32 v86, 0x3574, v84
	v_fmac_f16_e32 v4, 0xb70e, v3
	;; [unrolled: 1-line block ×6, first 2 shown]
	v_sub_f16_e32 v90, v87, v88
	v_add_f16_e32 v3, v22, v70
	v_sub_f16_e32 v80, v81, v76
	v_add_f16_e32 v81, v76, v81
	v_add_f16_e32 v89, v86, v2
	v_sub_f16_e32 v84, v2, v86
	v_add_f16_e32 v86, v88, v87
	;; [unrolled: 3-line block ×3, first 2 shown]
	v_add_f16_e32 v85, v4, v77
	v_sub_f16_e32 v83, v77, v4
	v_sub_f16_e32 v77, v95, v93
	v_add_f16_e32 v4, v37, v30
	v_add_f16_e32 v2, v3, v82
	;; [unrolled: 1-line block ×4, first 2 shown]
	v_pack_b32_f16 v93, v76, v77
	v_add_f16_e32 v77, v32, v71
	v_add_f16_e32 v91, v4, v2
	v_lshrrev_b32_e32 v92, 16, v78
	v_pack_b32_f16 v89, v89, v90
	v_pack_b32_f16 v80, v80, v85
	v_add_f16_e32 v76, v77, v94
	v_add_f16_e32 v2, v91, v78
	;; [unrolled: 1-line block ×3, first 2 shown]
	v_pack_b32_f16 v81, v81, v83
	v_pack_b32_f16 v83, v84, v86
	;; [unrolled: 1-line block ×3, first 2 shown]
	v_and_b32_e32 v96, 0xffff, v2
	v_add_f16_e32 v95, v78, v76
	ds_store_b32 v251, v93 offset:1372
	ds_store_b32 v251, v89 offset:2744
	;; [unrolled: 1-line block ×6, first 2 shown]
	v_add_f16_e32 v87, v44, v74
	v_sub_f16_e32 v88, v44, v74
	v_add_f16_e32 v76, v95, v92
	v_add_f16_e32 v74, v49, v69
	v_sub_f16_e32 v34, v34, v68
	v_sub_f16_e32 v68, v22, v70
	v_add_f16_e32 v83, v45, v51
	v_lshlrev_b32_e32 v92, 16, v76
	v_add_f16_e32 v22, v74, v87
	v_sub_f16_e32 v70, v32, v71
	v_sub_f16_e32 v71, v30, v37
	v_add_f16_e32 v89, v47, v75
	v_or_b32_e32 v92, v92, v96
	ds_load_2addr_b32 v[96:97], v251 offset0:98 offset1:147
	ds_load_2addr_b32 v[123:124], v251 offset0:196 offset1:245
	v_add_f16_e32 v30, v83, v22
	v_add_f16_e32 v80, v48, v72
	;; [unrolled: 1-line block ×3, first 2 shown]
	ds_store_2addr_b32 v251, v79, v92 offset1:49
	v_sub_f16_e32 v79, v35, v73
	v_sub_f16_e32 v73, v40, v38
	v_add_f16_e32 v40, v71, v68
	v_sub_f16_e32 v90, v47, v75
	v_sub_f16_e32 v75, v48, v72
	;; [unrolled: 1-line block ×5, first 2 shown]
	v_add_f16_e32 v45, v40, v34
	v_sub_f16_e32 v92, v34, v71
	v_sub_f16_e32 v48, v68, v34
	v_add_f16_e32 v34, v73, v70
	v_sub_f16_e32 v50, v70, v79
	v_fmac_f16_e32 v76, 0xbcab, v95
	s_waitcnt lgkmcnt(2)
	v_add_f16_e32 v32, v30, v96
	v_sub_f16_e32 v46, v3, v82
	v_sub_f16_e32 v47, v77, v94
	v_add_f16_e32 v44, v34, v79
	v_sub_f16_e32 v94, v79, v73
	v_and_b32_e32 v22, 0xffff, v32
	v_fmac_f16_e32 v32, 0xbcab, v30
	v_add_f16_e32 v30, v80, v89
	v_mul_f16_e32 v34, 0x3b00, v48
	v_fmac_f16_e32 v2, 0xbcab, v91
	v_sub_f16_e32 v69, v49, v69
	v_sub_f16_e32 v86, v74, v87
	v_add_f16_e32 v37, v85, v30
	v_lshrrev_b32_e32 v30, 16, v96
	v_mul_f16_e32 v96, 0x3a52, v38
	v_fmac_f16_e32 v34, 0x3574, v92
	v_add_f16_e32 v72, v81, v69
	v_sub_f16_e32 v91, v75, v90
	v_add_f16_e32 v35, v37, v30
	v_fma_f16 v40, v47, 0xb9e0, -v96
	v_fmac_f16_e32 v34, 0xb70e, v45
	v_sub_f16_e32 v99, v88, v81
	v_sub_f16_e32 v102, v90, v84
	v_lshlrev_b32_e32 v30, 16, v35
	v_fmac_f16_e32 v35, 0xbcab, v37
	v_sub_f16_e32 v37, v82, v4
	v_add_f16_e32 v40, v40, v76
	v_add_f16_e32 v82, v72, v88
	;; [unrolled: 1-line block ×3, first 2 shown]
	v_lshrrev_b32_e32 v19, 16, v97
	v_mul_f16_e32 v95, 0x3a52, v37
	v_mul_f16_e32 v37, 0x3b00, v50
	v_sub_f16_e32 v51, v40, v34
	v_sub_f16_e32 v68, v71, v68
	;; [unrolled: 1-line block ×3, first 2 shown]
	v_fma_f16 v38, v46, 0xb9e0, -v95
	v_fmac_f16_e32 v37, 0x3574, v94
	v_sub_f16_e32 v3, v4, v3
	v_sub_f16_e32 v4, v78, v77
	v_mul_f16_e32 v70, 0x3846, v70
	v_add_f16_e32 v38, v38, v2
	v_fmac_f16_e32 v37, 0xb70e, v44
	v_mul_f16_e32 v68, 0x3846, v68
	v_sub_f16_e32 v71, v83, v74
	v_sub_f16_e32 v73, v85, v80
	;; [unrolled: 1-line block ×3, first 2 shown]
	v_add_f16_e32 v49, v37, v38
	v_fmamk_f16 v75, v3, 0x2b26, v95
	v_fmamk_f16 v77, v4, 0x2b26, v96
	v_fmamk_f16 v78, v94, 0xb574, v70
	v_mul_f16_e32 v3, 0x2b26, v3
	v_pack_b32_f16 v93, v49, v51
	v_sub_f16_e32 v49, v87, v83
	v_sub_f16_e32 v87, v80, v89
	;; [unrolled: 1-line block ×4, first 2 shown]
	v_add_f16_e32 v88, v72, v90
	v_mul_f16_e32 v107, 0x3a52, v49
	v_fmamk_f16 v80, v92, 0xb574, v68
	v_mul_f16_e32 v108, 0x3a52, v51
	v_mul_f16_e32 v49, 0x3b00, v89
	;; [unrolled: 1-line block ×3, first 2 shown]
	v_fma_f16 v72, v86, 0xb9e0, -v107
	v_mul_f16_e32 v4, 0x2b26, v4
	v_fma_f16 v79, v87, 0xb9e0, -v108
	v_fmac_f16_e32 v49, 0x3574, v99
	v_fmac_f16_e32 v51, 0x3574, v102
	v_add_f16_e32 v72, v72, v32
	v_sub_f16_e32 v69, v81, v69
	v_add_f16_e32 v79, v79, v35
	v_fmac_f16_e32 v49, 0xb70e, v82
	v_fmac_f16_e32 v51, 0xb70e, v88
	v_add_f16_e32 v75, v75, v2
	v_add_f16_e32 v77, v77, v76
	v_fmac_f16_e32 v78, 0xb70e, v44
	v_sub_f16_e32 v98, v79, v49
	v_add_f16_e32 v90, v51, v72
	v_fmac_f16_e32 v80, 0xb70e, v45
	v_fma_f16 v3, v46, 0x39e0, -v3
	v_fma_f16 v4, v47, 0x39e0, -v4
	;; [unrolled: 1-line block ×3, first 2 shown]
	v_pack_b32_f16 v90, v90, v98
	v_add_nc_u32_e32 v98, 0xa00, v251
	v_add_f16_e32 v81, v78, v75
	v_sub_f16_e32 v83, v77, v80
	v_mul_f16_e32 v74, 0x3846, v74
	v_mul_f16_e32 v69, 0x3846, v69
	ds_store_2addr_b32 v98, v93, v90 offset0:95 offset1:144
	v_add_f16_e32 v90, v29, v62
	v_sub_f16_e32 v29, v29, v62
	v_add_f16_e32 v62, v27, v67
	v_add_f16_e32 v93, v24, v26
	v_sub_f16_e32 v27, v27, v67
	v_add_f16_e32 v15, v109, v90
	v_sub_f16_e32 v67, v26, v24
	;; [unrolled: 2-line block ×3, first 2 shown]
	v_sub_f16_e32 v41, v109, v90
	v_add_f16_e32 v15, v66, v15
	v_sub_f16_e32 v42, v112, v62
	v_sub_f16_e32 v36, v67, v113
	;; [unrolled: 1-line block ×4, first 2 shown]
	v_add_f16_e32 v23, v15, v97
	v_fma_f16 v39, v41, 0x39e0, -v39
	v_mul_f16_e32 v125, 0x3846, v36
	v_sub_f16_e32 v117, v114, v98
	v_sub_f16_e32 v121, v115, v63
	v_and_b32_e32 v97, 0xffff, v23
	v_fmac_f16_e32 v23, 0xbcab, v15
	v_add_f16_e32 v15, v112, v62
	v_sub_f16_e32 v112, v93, v112
	v_fma_f16 v36, v60, 0xbb00, -v125
	v_fma_f16 v47, v50, 0xbb00, -v70
	v_fmac_f16_e32 v46, 0xb70e, v45
	v_add_f16_e32 v15, v93, v15
	v_mul_f16_e32 v61, 0x2b26, v112
	v_mul_f16_e32 v45, 0x2b26, v73
	v_pack_b32_f16 v81, v81, v83
	v_fmamk_f16 v83, v71, 0x2b26, v107
	v_add_f16_e32 v24, v15, v19
	v_fma_f16 v109, v42, 0x39e0, -v61
	v_fmamk_f16 v84, v73, 0x2b26, v108
	v_fma_f16 v45, v87, 0x39e0, -v45
	v_fma_f16 v48, v89, 0xbb00, -v69
	v_lshlrev_b32_e32 v101, 16, v24
	v_fmac_f16_e32 v24, 0xbcab, v15
	v_add_f16_e32 v15, v114, v98
	v_fma_f16 v50, v91, 0xbb00, -v74
	v_fmac_f16_e32 v47, 0xb70e, v44
	v_add_f16_e32 v83, v83, v32
	v_add_f16_e32 v31, v109, v24
	;; [unrolled: 1-line block ×4, first 2 shown]
	v_fmac_f16_e32 v48, 0xb70e, v82
	v_fmac_f16_e32 v50, 0xb70e, v88
	v_fmamk_f16 v85, v102, 0xb574, v74
	s_waitcnt lgkmcnt(2)
	v_add_f16_e32 v25, v19, v123
	v_fmamk_f16 v92, v99, 0xb574, v69
	s_delay_alu instid0(VALU_DEP_3) | instskip(NEXT) | instid1(VALU_DEP_3)
	v_fmac_f16_e32 v85, 0xb70e, v88
	v_and_b32_e32 v15, 0xffff, v25
	v_fmac_f16_e32 v25, 0xbcab, v19
	v_add_f16_e32 v19, v116, v100
	v_mul_f16_e64 v116, 0x2b26, v130
	v_fmac_f16_e32 v92, 0xb70e, v82
	v_add_f16_e32 v94, v85, v83
	s_delay_alu instid0(VALU_DEP_4) | instskip(SKIP_3) | instid1(VALU_DEP_3)
	v_add_f16_e32 v28, v106, v19
	v_lshrrev_b32_e32 v19, 16, v123
	v_fma_f16 v116, v117, 0x39e0, -v116
	v_sub_f16_e32 v95, v84, v92
	v_add_f16_e32 v26, v28, v19
	s_delay_alu instid0(VALU_DEP_2) | instskip(NEXT) | instid1(VALU_DEP_2)
	v_pack_b32_f16 v94, v94, v95
	v_lshlrev_b32_e32 v19, 16, v26
	v_fmac_f16_e32 v26, 0xbcab, v28
	v_add_f16_e32 v28, v65, v110
	ds_store_2addr_b32 v253, v81, v94 offset0:136 offset1:185
	v_add_f16_e32 v33, v28, v29
	v_add_f16_e32 v28, v67, v113
	v_sub_f16_e32 v113, v103, v115
	s_delay_alu instid0(VALU_DEP_2) | instskip(SKIP_2) | instid1(VALU_DEP_4)
	v_add_f16_e32 v61, v28, v27
	v_add_f16_e32 v28, v39, v23
	v_fma_f16 v39, v43, 0xbb00, -v126
	v_mul_f16_e64 v136, 0x3846, v113
	s_delay_alu instid0(VALU_DEP_4) | instskip(NEXT) | instid1(VALU_DEP_3)
	v_fmac_f16_e32 v36, 0xb70e, v61
	v_fmac_f16_e32 v39, 0xb70e, v33
	s_delay_alu instid0(VALU_DEP_3) | instskip(NEXT) | instid1(VALU_DEP_3)
	v_fma_f16 v120, v121, 0xbb00, -v136
	v_add_f16_e32 v109, v36, v28
	s_delay_alu instid0(VALU_DEP_3) | instskip(NEXT) | instid1(VALU_DEP_1)
	v_sub_f16_e32 v110, v31, v39
	v_pack_b32_f16 v109, v109, v110
	v_add_f16_e32 v110, v103, v115
	v_sub_f16_e32 v115, v105, v118
	s_delay_alu instid0(VALU_DEP_2) | instskip(SKIP_2) | instid1(VALU_DEP_4)
	v_add_f16_e32 v114, v110, v63
	v_add_f16_e32 v110, v105, v118
	v_mul_f16_e64 v118, 0x2b26, v132
	v_mul_f16_e64 v134, 0x3846, v115
	v_add_f16_e32 v115, v116, v25
	v_fmac_f16_e32 v120, 0xb70e, v114
	v_add_f16_e32 v123, v110, v64
	v_fma_f16 v118, v119, 0x39e0, -v118
	s_delay_alu instid0(VALU_DEP_1) | instskip(SKIP_1) | instid1(VALU_DEP_2)
	v_add_f16_e32 v116, v118, v26
	v_fma_f16 v118, v122, 0xbb00, -v134
	v_sub_f16_e32 v113, v116, v120
	s_delay_alu instid0(VALU_DEP_2) | instskip(NEXT) | instid1(VALU_DEP_1)
	v_fmac_f16_e32 v118, 0xb70e, v123
	v_add_f16_e32 v110, v118, v115
	s_delay_alu instid0(VALU_DEP_1)
	v_pack_b32_f16 v110, v110, v113
	v_add_nc_u32_e32 v113, 0x1600, v251
	ds_store_2addr_b32 v113, v109, v110 offset0:111 offset1:160
	v_add_f16_e32 v109, v12, v54
	v_sub_f16_e32 v110, v12, v54
	v_add_f16_e32 v12, v10, v59
	v_sub_f16_e32 v54, v10, v59
	;; [unrolled: 2-line block ×3, first 2 shown]
	v_add_f16_e32 v1, v8, v5
	v_add_f16_e32 v55, v6, v56
	v_sub_f16_e32 v56, v6, v56
	v_add_f16_e32 v5, v59, v109
	v_lshrrev_b32_e32 v6, 16, v124
	v_sub_f16_e64 v140, v110, v133
	v_sub_f16_e64 v16, v135, v55
	;; [unrolled: 1-line block ×3, first 2 shown]
	v_add_f16_e32 v5, v1, v5
	v_sub_f16_e64 v141, v54, v137
	s_delay_alu instid0(VALU_DEP_3) | instskip(NEXT) | instid1(VALU_DEP_3)
	v_mul_f16_e32 v21, 0x3846, v21
	v_add_f16_e32 v7, v5, v124
	v_add_f16_e32 v124, v11, v57
	;; [unrolled: 1-line block ×3, first 2 shown]
	v_sub_f16_e32 v18, v18, v58
	v_add_f16_e32 v58, v13, v52
	v_and_b32_e32 v129, 0xffff, v7
	v_fmac_f16_e32 v7, 0xbcab, v5
	v_add_f16_e32 v5, v55, v12
	v_add_f16_e32 v52, v17, v53
	v_sub_f16_e32 v17, v17, v53
	v_add_f16_e32 v53, v14, v20
	v_sub_f16_e32 v14, v1, v59
	v_add_f16_e64 v5, v135, v5
	v_sub_f16_e64 v20, v133, v113
	v_fma_f16 v147, 0xb574, v141, v21
	v_sub_f16_e64 v143, v57, v138
	v_sub_f16_e64 v153, v142, v17
	v_add_f16_e32 v8, v5, v6
	v_mul_f16_e32 v20, 0x3846, v20
	v_sub_f16_e64 v151, v18, v142
	v_mul_f16_e64 v148, 0x3a52, v143
	v_mul_f16_e64 v143, 0x3846, v153
	v_lshlrev_b32_e32 v131, 16, v8
	v_fmac_f16_e32 v8, 0xbcab, v5
	v_add_f16_e32 v5, v58, v124
	v_fma_f16 v149, 0xb574, v140, v20
	v_fma_f16 v155, 0xb574, v151, v143
	s_delay_alu instid0(VALU_DEP_3) | instskip(NEXT) | instid1(VALU_DEP_1)
	v_add_f16_e32 v6, v53, v5
	v_add_f16_e32 v9, v6, v0
	v_lshrrev_b32_e32 v0, 16, v0
	s_delay_alu instid0(VALU_DEP_2) | instskip(SKIP_2) | instid1(VALU_DEP_1)
	v_and_b32_e32 v5, 0xffff, v9
	v_fmac_f16_e32 v9, 0xbcab, v6
	v_add_f16_e32 v6, v52, v57
	v_add_f16_e64 v11, v138, v6
	v_sub_f16_e64 v138, v138, v52
	s_delay_alu instid0(VALU_DEP_2) | instskip(SKIP_2) | instid1(VALU_DEP_3)
	v_add_f16_e32 v10, v11, v0
	v_sub_f16_e32 v0, v109, v1
	v_sub_f16_e64 v1, v12, v135
	v_lshlrev_b32_e32 v6, 16, v10
	v_fmac_f16_e32 v10, 0xbcab, v11
	v_add_f16_e64 v11, v133, v113
	v_mul_f16_e64 v133, 0x3a52, v0
	v_mul_f16_e64 v135, 0x3a52, v1
	s_delay_alu instid0(VALU_DEP_3) | instskip(SKIP_1) | instid1(VALU_DEP_4)
	v_add_f16_e32 v13, v11, v110
	v_add_f16_e64 v11, v137, v56
	v_fma_f16 v0, 0x2b26, v14, v133
	v_sub_f16_e64 v137, v53, v58
	v_mul_f16_e32 v14, 0x2b26, v14
	v_fmac_f16_e64 v149, 0xb70e, v13
	v_add_f16_e32 v11, v11, v54
	v_add_f16_e64 v144, v0, v7
	v_fma_f16 v0, 0x2b26, v16, v135
	s_delay_alu instid0(VALU_DEP_3) | instskip(NEXT) | instid1(VALU_DEP_2)
	v_fmac_f16_e64 v147, 0xb70e, v11
	v_add_f16_e64 v145, v0, v8
	s_delay_alu instid0(VALU_DEP_2) | instskip(NEXT) | instid1(VALU_DEP_2)
	v_sub_f16_e64 v0, v144, v147
	v_add_f16_e64 v1, v149, v145
	s_delay_alu instid0(VALU_DEP_1)
	v_pack_b32_f16 v0, v0, v1
	v_sub_f16_e32 v1, v124, v53
	v_add_f16_e64 v53, v139, v128
	v_add_f16_e64 v139, v142, v17
	v_mul_f16_e64 v142, 0x3846, v152
	v_sub_f16_e32 v17, v17, v18
	v_mul_f16_e64 v146, 0x3a52, v1
	v_add_f16_e32 v53, v53, v127
	v_add_f16_e64 v139, v139, v18
	v_fma_f16 v156, 0xb574, v150, v142
	s_delay_alu instid0(VALU_DEP_4) | instskip(NEXT) | instid1(VALU_DEP_3)
	v_fma_f16 v1, 0x2b26, v137, v146
	v_fmac_f16_e64 v155, 0xb70e, v139
	s_delay_alu instid0(VALU_DEP_3) | instskip(NEXT) | instid1(VALU_DEP_3)
	v_fmac_f16_e64 v156, 0xb70e, v53
	v_add_f16_e64 v153, v1, v9
	v_fma_f16 v1, 0x2b26, v138, v148
	s_delay_alu instid0(VALU_DEP_1) | instskip(NEXT) | instid1(VALU_DEP_3)
	v_add_f16_e64 v154, v1, v10
	v_sub_f16_e64 v1, v153, v155
	s_delay_alu instid0(VALU_DEP_2) | instskip(NEXT) | instid1(VALU_DEP_1)
	v_add_f16_e64 v152, v156, v154
	v_pack_b32_f16 v1, v1, v152
	v_add_nc_u32_e32 v152, 0x2200, v251
	ds_store_2addr_b32 v152, v0, v1 offset0:127 offset1:176
	scratch_load_b64 v[0:1], off, off offset:352 ; 8-byte Folded Reload
	s_waitcnt vmcnt(0)
	v_mov_b32_e32 v152, v0
	s_delay_alu instid0(VALU_DEP_1) | instskip(NEXT) | instid1(VALU_DEP_1)
	v_mad_u64_u32 v[0:1], null, s10, v152, 0
	v_mad_u64_u32 v[157:158], null, s11, v152, v[1:2]
	v_add_f16_e32 v2, v3, v2
	v_add_f16_e32 v3, v4, v76
	v_mul_f16_e32 v4, 0x2b26, v71
	s_mov_b32 s10, 0xb4e81b4f
	s_mov_b32 s11, 0x3f3b4e81
	s_delay_alu instid0(VALU_DEP_2) | instskip(NEXT) | instid1(VALU_DEP_2)
	v_add_f16_e32 v44, v46, v3
	v_fma_f16 v4, v86, 0x39e0, -v4
	v_sub_f16_e32 v3, v3, v46
	v_mov_b32_e32 v1, v157
	v_mad_u64_u32 v[157:158], null, s8, v199, 0
	s_delay_alu instid0(VALU_DEP_4) | instskip(SKIP_4) | instid1(VALU_DEP_4)
	v_add_f16_e32 v4, v4, v32
	v_add_f16_e32 v32, v45, v35
	v_sub_f16_e32 v35, v2, v47
	v_add_f16_e32 v2, v47, v2
	v_lshlrev_b64 v[0:1], 2, v[0:1]
	v_add_f16_e32 v45, v48, v32
	s_delay_alu instid0(VALU_DEP_4)
	v_pack_b32_f16 v35, v35, v44
	v_sub_f16_e32 v44, v4, v50
	v_add_f16_e32 v4, v50, v4
	v_sub_f16_e32 v32, v32, v48
	v_pack_b32_f16 v2, v2, v3
	v_mov_b32_e32 v152, v158
	v_pack_b32_f16 v44, v44, v45
	s_delay_alu instid0(VALU_DEP_4)
	v_pack_b32_f16 v3, v4, v32
	v_sub_f16_e32 v4, v72, v51
	v_add_f16_e32 v32, v49, v79
	ds_store_2addr_b32 v207, v35, v44 offset0:54 offset1:103
	v_mad_u64_u32 v[158:159], null, s9, v199, v[152:153]
	ds_store_2addr_b32 v222, v2, v3 offset0:141 offset1:190
	v_sub_f16_e32 v2, v38, v37
	v_add_f16_e32 v3, v34, v40
	v_add_co_u32 v152, vcc_lo, s0, v0
	v_add_co_ci_u32_e32 v159, vcc_lo, s1, v1, vcc_lo
	s_delay_alu instid0(VALU_DEP_3)
	v_pack_b32_f16 v2, v2, v3
	v_pack_b32_f16 v3, v4, v32
	v_sub_f16_e32 v4, v83, v85
	v_add_f16_e32 v32, v92, v84
	v_lshlrev_b64 v[0:1], 2, v[157:158]
	ds_store_2addr_b32 v250, v2, v3 offset0:100 offset1:149
	v_sub_f16_e32 v2, v75, v78
	v_add_f16_e32 v3, v80, v77
	v_add_co_u32 v0, vcc_lo, v152, v0
	v_add_co_ci_u32_e32 v1, vcc_lo, v159, v1, vcc_lo
	s_delay_alu instid0(VALU_DEP_3)
	v_pack_b32_f16 v2, v2, v3
	v_pack_b32_f16 v3, v4, v32
	v_sub_f16_e32 v4, v29, v65
	v_sub_f16_e32 v29, v100, v106
	;; [unrolled: 1-line block ×3, first 2 shown]
	ds_store_2addr_b32 v186, v2, v3 offset0:59 offset1:108
	v_or_b32_e32 v2, v30, v22
	v_or_b32_e32 v3, v101, v97
	v_sub_f16_e32 v22, v27, v67
	v_fmamk_f16 v38, v4, 0xb574, v126
	v_sub_f16_e32 v27, v98, v104
	v_sub_f16_e32 v30, v63, v103
	ds_store_2addr_b32 v251, v2, v3 offset0:98 offset1:147
	v_sub_f16_e32 v2, v90, v66
	v_sub_f16_e32 v3, v62, v93
	v_fmamk_f16 v37, v22, 0xb574, v125
	v_fmac_f16_e32 v38, 0xb70e, v33
	v_mul_f16_e32 v27, 0x3a52, v27
	v_mul_f16_e32 v2, 0x3a52, v2
	;; [unrolled: 1-line block ×3, first 2 shown]
	v_fmac_f16_e32 v37, 0xb70e, v61
	v_mul_f16_e32 v29, 0x3a52, v29
	v_fma_f16 v46, 0xb574, v32, v134
	v_fmamk_f16 v34, v111, 0x2b26, v2
	v_fmamk_f16 v35, v112, 0x2b26, v3
	v_fma_f16 v47, 0xb574, v30, v136
	v_fma_f16 v45, 0x2b26, v132, v29
	v_fmac_f16_e32 v46, 0xb70e, v123
	v_add_f16_e32 v34, v34, v23
	v_add_f16_e32 v35, v35, v24
	v_fmac_f16_e32 v47, 0xb70e, v114
	v_add_f16_e32 v45, v45, v26
	v_fma_f16 v3, v42, 0xb9e0, -v3
	v_add_f16_e32 v40, v37, v34
	v_sub_f16_e32 v44, v35, v38
	v_fma_f16 v2, v41, 0xb9e0, -v2
	v_sub_f16_e32 v49, v45, v47
	v_add_f16_e32 v3, v3, v24
	v_mul_f16_e32 v24, 0x3b00, v121
	v_pack_b32_f16 v40, v40, v44
	v_fma_f16 v44, 0x2b26, v130, v27
	v_add_f16_e32 v2, v2, v23
	v_fma_f16 v23, v119, 0xb9e0, -v29
	v_fmac_f16_e32 v24, 0x3574, v30
	s_delay_alu instid0(VALU_DEP_4) | instskip(NEXT) | instid1(VALU_DEP_3)
	v_add_f16_e32 v44, v44, v25
	v_add_f16_e32 v23, v23, v26
	s_delay_alu instid0(VALU_DEP_3) | instskip(NEXT) | instid1(VALU_DEP_3)
	v_fmac_f16_e32 v24, 0xb70e, v114
	v_add_f16_e32 v48, v46, v44
	s_delay_alu instid0(VALU_DEP_2) | instskip(NEXT) | instid1(VALU_DEP_2)
	v_sub_f16_e32 v29, v23, v24
	v_pack_b32_f16 v48, v48, v49
	ds_store_2addr_b32 v238, v40, v48 offset0:106 offset1:155
	v_mul_f16_e32 v40, 0x3b00, v60
	s_delay_alu instid0(VALU_DEP_1) | instskip(SKIP_1) | instid1(VALU_DEP_2)
	v_fmac_f16_e32 v40, 0x3574, v22
	v_mul_f16_e32 v22, 0x3b00, v43
	v_fmac_f16_e32 v40, 0xb70e, v61
	s_delay_alu instid0(VALU_DEP_2) | instskip(SKIP_2) | instid1(VALU_DEP_3)
	v_fmac_f16_e32 v22, 0x3574, v4
	v_fma_f16 v4, v117, 0xb9e0, -v27
	v_mul_f16_e32 v27, 0x3b00, v122
	v_fmac_f16_e32 v22, 0xb70e, v33
	s_delay_alu instid0(VALU_DEP_3) | instskip(NEXT) | instid1(VALU_DEP_3)
	v_add_f16_e32 v4, v4, v25
	v_fmac_f16_e32 v27, 0x3574, v32
	v_add_f16_e32 v25, v40, v2
	v_sub_f16_e32 v2, v2, v40
	v_sub_f16_e32 v26, v3, v22
	v_add_f16_e32 v3, v22, v3
	v_fmac_f16_e32 v27, 0xb70e, v123
	v_add_f16_e32 v22, v24, v23
	v_sub_f16_e32 v23, v58, v124
	v_pack_b32_f16 v25, v25, v26
	v_pack_b32_f16 v2, v2, v3
	v_add_f16_e32 v26, v27, v4
	v_sub_f16_e32 v4, v4, v27
	v_sub_f16_e32 v24, v52, v57
	s_delay_alu instid0(VALU_DEP_3) | instskip(NEXT) | instid1(VALU_DEP_3)
	v_pack_b32_f16 v26, v26, v29
	v_pack_b32_f16 v3, v4, v22
	v_sub_f16_e32 v4, v44, v46
	v_add_f16_e32 v22, v47, v45
	v_add_f16_e32 v29, v120, v116
	ds_store_2addr_b32 v196, v25, v26 offset0:65 offset1:114
	ds_store_2addr_b32 v176, v2, v3 offset0:70 offset1:119
	v_sub_f16_e32 v2, v34, v37
	v_add_f16_e32 v3, v38, v35
	v_sub_f16_e32 v25, v28, v36
	v_add_f16_e32 v26, v39, v31
	v_sub_f16_e32 v28, v115, v118
	v_fma_f16 v30, v24, 0xb9e0, -v148
	v_pack_b32_f16 v2, v2, v3
	v_pack_b32_f16 v3, v4, v22
	v_add_f16_e64 v4, v155, v153
	v_pack_b32_f16 v25, v25, v26
	v_pack_b32_f16 v26, v28, v29
	v_add_f16_e32 v30, v30, v10
	ds_store_2addr_b32 v186, v2, v3 offset0:157 offset1:206
	v_or_b32_e32 v2, v19, v15
	v_or_b32_e32 v3, v131, v129
	v_sub_f16_e64 v15, v154, v156
	ds_store_2addr_b32 v207, v25, v26 offset0:152 offset1:201
	v_sub_f16_e64 v19, v128, v127
	v_mul_f16_e32 v25, 0x3b00, v17
	ds_store_2addr_b32 v251, v2, v3 offset0:196 offset1:245
	v_add_f16_e64 v2, v147, v144
	v_sub_f16_e64 v3, v145, v149
	v_mul_f16_e32 v18, 0x3b00, v19
	v_fmac_f16_e64 v25, 0x3574, v151
	s_delay_alu instid0(VALU_DEP_3)
	v_pack_b32_f16 v2, v2, v3
	v_pack_b32_f16 v3, v4, v15
	v_sub_f16_e32 v4, v55, v12
	v_sub_f16_e32 v12, v56, v54
	v_fmac_f16_e64 v18, 0x3574, v150
	v_fmac_f16_e64 v25, 0xb70e, v139
	ds_store_2addr_b32 v181, v2, v3 offset0:76 offset1:125
	v_sub_f16_e32 v2, v113, v110
	v_sub_f16_e32 v3, v59, v109
	v_mul_f16_e32 v22, 0x3b00, v12
	v_fma_f16 v27, v4, 0xb9e0, -v135
	v_fma_f16 v12, v12, 0xbb00, -v21
	v_mul_f16_e32 v15, 0x3b00, v2
	v_fma_f16 v26, v3, 0xb9e0, -v133
	v_fmac_f16_e64 v22, 0x3574, v141
	v_fma_f16 v3, v3, 0x39e0, -v14
	v_mul_f16_e32 v14, 0x2b26, v16
	v_fmac_f16_e64 v15, 0x3574, v140
	v_add_f16_e32 v26, v26, v7
	v_add_f16_e32 v27, v27, v8
	v_fmac_f16_e32 v22, 0xb70e, v11
	v_fma_f16 v4, v4, 0x39e0, -v14
	v_fmac_f16_e32 v15, 0xb70e, v13
	v_fma_f16 v2, v2, 0xbb00, -v20
	v_add_f16_e32 v3, v3, v7
	v_add_f16_e32 v28, v22, v26
	;; [unrolled: 1-line block ×3, first 2 shown]
	v_sub_f16_e32 v29, v27, v15
	v_mul_f16_e64 v7, 0x2b26, v137
	v_mul_f16_e64 v8, 0x2b26, v138
	v_fmac_f16_e32 v2, 0xb70e, v13
	v_fma_f16 v13, v19, 0xbb00, -v142
	v_pack_b32_f16 v28, v28, v29
	v_fma_f16 v29, v23, 0xb9e0, -v146
	v_fma_f16 v7, v23, 0x39e0, -v7
	;; [unrolled: 1-line block ×4, first 2 shown]
	v_fmac_f16_e32 v12, 0xb70e, v11
	v_add_f16_e32 v29, v29, v9
	v_add_f16_e32 v7, v7, v9
	;; [unrolled: 1-line block ×3, first 2 shown]
	v_fmac_f16_e32 v13, 0xb70e, v53
	v_fmac_f16_e64 v14, 0xb70e, v139
	v_sub_f16_e32 v9, v3, v12
	v_add_f16_e32 v10, v2, v4
	v_add_f16_e32 v3, v12, v3
	v_sub_f16_e32 v2, v4, v2
	v_add_f16_e32 v4, v14, v7
	v_fmac_f16_e32 v18, 0xb70e, v53
	v_pack_b32_f16 v9, v9, v10
	v_sub_f16_e32 v10, v7, v14
	v_sub_f16_e32 v7, v8, v13
	v_pack_b32_f16 v2, v3, v2
	v_add_f16_e32 v31, v25, v29
	v_sub_f16_e32 v32, v30, v18
	v_add_f16_e32 v11, v13, v8
	v_pack_b32_f16 v3, v4, v7
	v_sub_f16_e32 v4, v29, v25
	v_add_f16_e32 v7, v18, v30
	v_pack_b32_f16 v31, v31, v32
	v_pack_b32_f16 v10, v10, v11
	ds_store_2addr_b32 v195, v2, v3 offset0:81 offset1:130
	v_sub_f16_e32 v2, v26, v22
	v_add_f16_e32 v3, v15, v27
	ds_store_2addr_b32 v196, v28, v31 offset0:163 offset1:212
	ds_store_2addr_b32 v161, v9, v10 offset0:122 offset1:171
	v_pack_b32_f16 v2, v2, v3
	v_pack_b32_f16 v3, v4, v7
	ds_store_2addr_b32 v176, v2, v3 offset0:168 offset1:217
	v_or_b32_e32 v2, v6, v5
	ds_store_b32 v251, v2 offset:1176
	s_waitcnt lgkmcnt(0)
	s_barrier
	buffer_gl0_inv
	s_clause 0x5
	scratch_load_b32 v19, off, off offset:392
	scratch_load_b32 v26, off, off offset:396
	;; [unrolled: 1-line block ×6, first 2 shown]
	ds_load_2addr_b32 v[9:10], v251 offset1:49
	s_clause 0x5
	scratch_load_b32 v29, off, off offset:368
	scratch_load_b32 v32, off, off offset:372
	;; [unrolled: 1-line block ×6, first 2 shown]
	s_waitcnt lgkmcnt(0)
	v_lshrrev_b32_e32 v14, 16, v9
	s_waitcnt vmcnt(11)
	v_mul_f16_e32 v2, v19, v9
	s_waitcnt vmcnt(10)
	s_delay_alu instid0(VALU_DEP_1) | instskip(NEXT) | instid1(VALU_DEP_1)
	v_fma_f16 v2, v26, v14, -v2
	v_cvt_f32_f16_e32 v2, v2
	s_delay_alu instid0(VALU_DEP_1) | instskip(NEXT) | instid1(VALU_DEP_1)
	v_cvt_f64_f32_e32 v[2:3], v2
	v_mul_f64 v[2:3], v[2:3], s[10:11]
	s_delay_alu instid0(VALU_DEP_1) | instskip(SKIP_3) | instid1(VALU_DEP_4)
	v_and_or_b32 v2, 0x1ff, v3, v2
	v_lshrrev_b32_e32 v4, 8, v3
	v_bfe_u32 v20, v3, 20, 11
	v_lshrrev_b32_e32 v3, 16, v3
	v_cmp_ne_u32_e32 vcc_lo, 0, v2
	v_cndmask_b32_e64 v2, 0, 1, vcc_lo
	s_delay_alu instid0(VALU_DEP_1) | instskip(SKIP_1) | instid1(VALU_DEP_2)
	v_and_or_b32 v2, 0xffe, v4, v2
	v_sub_nc_u32_e32 v4, 0x3f1, v20
	v_or_b32_e32 v5, 0x1000, v2
	s_delay_alu instid0(VALU_DEP_2) | instskip(NEXT) | instid1(VALU_DEP_1)
	v_med3_i32 v4, v4, 0, 13
	v_lshrrev_b32_e32 v21, v4, v5
	s_delay_alu instid0(VALU_DEP_1) | instskip(NEXT) | instid1(VALU_DEP_1)
	v_lshlrev_b32_e32 v4, v4, v21
	v_cmp_ne_u32_e64 s1, v4, v5
	ds_load_2addr_b32 v[4:5], v253 offset0:38 offset1:87
	s_waitcnt lgkmcnt(0)
	v_lshrrev_b32_e32 v22, 16, v5
	s_waitcnt vmcnt(9)
	v_mul_f16_e32 v6, v30, v5
	s_waitcnt vmcnt(8)
	s_delay_alu instid0(VALU_DEP_1) | instskip(NEXT) | instid1(VALU_DEP_1)
	v_fma_f16 v6, v31, v22, -v6
	v_cvt_f32_f16_e32 v6, v6
	s_delay_alu instid0(VALU_DEP_1) | instskip(NEXT) | instid1(VALU_DEP_1)
	v_cvt_f64_f32_e32 v[6:7], v6
	v_mul_f64 v[12:13], v[6:7], s[10:11]
	s_delay_alu instid0(VALU_DEP_1) | instskip(SKIP_3) | instid1(VALU_DEP_4)
	v_and_or_b32 v6, 0x1ff, v13, v12
	v_lshrrev_b32_e32 v7, 8, v13
	v_bfe_u32 v24, v13, 20, 11
	v_lshrrev_b32_e32 v13, 16, v13
	v_cmp_ne_u32_e32 vcc_lo, 0, v6
	v_cndmask_b32_e64 v6, 0, 1, vcc_lo
	s_delay_alu instid0(VALU_DEP_1) | instskip(SKIP_1) | instid1(VALU_DEP_2)
	v_and_or_b32 v23, 0xffe, v7, v6
	v_sub_nc_u32_e32 v6, 0x3f1, v24
	v_or_b32_e32 v7, 0x1000, v23
	s_delay_alu instid0(VALU_DEP_2) | instskip(NEXT) | instid1(VALU_DEP_1)
	v_med3_i32 v6, v6, 0, 13
	v_lshrrev_b32_e32 v25, v6, v7
	s_delay_alu instid0(VALU_DEP_1) | instskip(NEXT) | instid1(VALU_DEP_1)
	v_lshlrev_b32_e32 v6, v6, v25
	v_cmp_ne_u32_e64 s0, v6, v7
	ds_load_2addr_b32 v[7:8], v181 offset0:174 offset1:223
	s_waitcnt lgkmcnt(0)
	v_lshrrev_b32_e32 v16, 16, v7
	s_waitcnt vmcnt(7)
	v_mul_f16_e32 v6, v33, v7
	s_waitcnt vmcnt(6)
	s_delay_alu instid0(VALU_DEP_1)
	v_fma_f16 v6, v34, v16, -v6
	v_mul_f16_e32 v16, v33, v16
	scratch_load_b32 v33, off, off offset:312 ; 4-byte Folded Reload
	v_cvt_f32_f16_e32 v6, v6
	v_fmac_f16_e32 v16, v34, v7
	scratch_load_b32 v34, off, off offset:316 ; 4-byte Folded Reload
	v_cvt_f64_f32_e32 v[11:12], v6
	v_cvt_f32_f16_e32 v7, v16
	s_delay_alu instid0(VALU_DEP_2) | instskip(NEXT) | instid1(VALU_DEP_1)
	v_mul_f64 v[11:12], v[11:12], s[10:11]
	v_and_or_b32 v6, 0x1ff, v12, v11
	v_lshrrev_b32_e32 v11, 8, v12
	v_bfe_u32 v15, v12, 20, 11
	s_delay_alu instid0(VALU_DEP_3) | instskip(SKIP_1) | instid1(VALU_DEP_1)
	v_cmp_ne_u32_e32 vcc_lo, 0, v6
	v_cndmask_b32_e64 v6, 0, 1, vcc_lo
	v_and_or_b32 v11, 0xffe, v11, v6
	s_delay_alu instid0(VALU_DEP_4) | instskip(SKIP_1) | instid1(VALU_DEP_3)
	v_sub_nc_u32_e32 v6, 0x3f1, v15
	v_add_nc_u32_e32 v15, 0xfffffc10, v15
	v_or_b32_e32 v18, 0x1000, v11
	s_delay_alu instid0(VALU_DEP_3) | instskip(NEXT) | instid1(VALU_DEP_1)
	v_med3_i32 v6, v6, 0, 13
	v_lshrrev_b32_e32 v17, v6, v18
	s_delay_alu instid0(VALU_DEP_1) | instskip(NEXT) | instid1(VALU_DEP_1)
	v_lshlrev_b32_e32 v6, v6, v17
	v_cmp_ne_u32_e32 vcc_lo, v6, v18
	v_mul_f16_e32 v6, v19, v14
	s_delay_alu instid0(VALU_DEP_1) | instskip(NEXT) | instid1(VALU_DEP_1)
	v_fmac_f16_e32 v6, v26, v9
	v_cvt_f32_f16_e32 v6, v6
	s_delay_alu instid0(VALU_DEP_1) | instskip(NEXT) | instid1(VALU_DEP_1)
	v_cvt_f64_f32_e32 v[18:19], v6
	v_mul_f64 v[18:19], v[18:19], s[10:11]
	s_delay_alu instid0(VALU_DEP_1) | instskip(SKIP_1) | instid1(VALU_DEP_2)
	v_and_or_b32 v6, 0x1ff, v19, v18
	v_lshrrev_b32_e32 v9, 8, v19
	v_cmp_ne_u32_e64 s2, 0, v6
	s_delay_alu instid0(VALU_DEP_1) | instskip(NEXT) | instid1(VALU_DEP_1)
	v_cndmask_b32_e64 v6, 0, 1, s2
	v_and_or_b32 v6, 0xffe, v9, v6
	v_bfe_u32 v9, v19, 20, 11
	s_delay_alu instid0(VALU_DEP_2) | instskip(NEXT) | instid1(VALU_DEP_2)
	v_or_b32_e32 v18, 0x1000, v6
	v_sub_nc_u32_e32 v14, 0x3f1, v9
	v_add_nc_u32_e32 v9, 0xfffffc10, v9
	s_delay_alu instid0(VALU_DEP_2) | instskip(NEXT) | instid1(VALU_DEP_1)
	v_med3_i32 v14, v14, 0, 13
	v_lshrrev_b32_e32 v26, v14, v18
	s_delay_alu instid0(VALU_DEP_1) | instskip(NEXT) | instid1(VALU_DEP_1)
	v_lshlrev_b32_e32 v14, v14, v26
	v_cmp_ne_u32_e64 s2, v14, v18
	v_lshl_or_b32 v18, v9, 12, v6
	s_delay_alu instid0(VALU_DEP_2) | instskip(SKIP_1) | instid1(VALU_DEP_2)
	v_cndmask_b32_e64 v14, 0, 1, s2
	v_cmp_gt_i32_e64 s2, 1, v9
	v_or_b32_e32 v14, v26, v14
	s_delay_alu instid0(VALU_DEP_1) | instskip(NEXT) | instid1(VALU_DEP_1)
	v_cndmask_b32_e64 v14, v18, v14, s2
	v_and_b32_e32 v18, 7, v14
	v_lshrrev_b32_e32 v14, 2, v14
	s_delay_alu instid0(VALU_DEP_2) | instskip(SKIP_4) | instid1(VALU_DEP_4)
	v_cmp_lt_i32_e64 s2, 5, v18
	v_cmp_eq_u32_e64 s3, 3, v18
	v_cndmask_b32_e64 v18, 0, 1, s1
	v_cmp_ne_u32_e64 s1, 0, v6
	v_add_nc_u32_e32 v6, 0xfffffc10, v20
	s_or_b32 s2, s3, s2
	s_delay_alu instid0(VALU_DEP_3) | instskip(SKIP_1) | instid1(VALU_DEP_3)
	v_or_b32_e32 v18, v21, v18
	v_add_co_ci_u32_e64 v14, s2, 0, v14, s2
	v_lshl_or_b32 v20, v6, 12, v2
	v_cmp_gt_i32_e64 s4, 1, v6
	v_cmp_gt_i32_e64 s2, 31, v9
	v_cmp_ne_u32_e64 s3, 0, v2
	s_delay_alu instid0(VALU_DEP_3) | instskip(SKIP_1) | instid1(VALU_DEP_4)
	v_cndmask_b32_e64 v18, v20, v18, s4
	v_cndmask_b32_e64 v20, 0, 1, s1
	;; [unrolled: 1-line block ×3, first 2 shown]
	v_cmp_eq_u32_e64 s1, 0x40f, v9
	s_delay_alu instid0(VALU_DEP_4) | instskip(NEXT) | instid1(VALU_DEP_4)
	v_lshrrev_b32_e32 v2, 2, v18
	v_lshl_or_b32 v20, v20, 9, 0x7c00
	s_delay_alu instid0(VALU_DEP_1) | instskip(SKIP_3) | instid1(VALU_DEP_2)
	v_cndmask_b32_e64 v9, v14, v20, s1
	v_lshrrev_b32_e32 v14, 16, v19
	v_and_b32_e32 v19, 7, v18
	v_cndmask_b32_e64 v18, 0, 1, s3
	v_cmp_lt_i32_e64 s1, 5, v19
	v_cmp_eq_u32_e64 s2, 3, v19
	s_delay_alu instid0(VALU_DEP_3) | instskip(NEXT) | instid1(VALU_DEP_2)
	v_lshl_or_b32 v18, v18, 9, 0x7c00
	s_or_b32 s1, s2, s1
	s_delay_alu instid0(SALU_CYCLE_1) | instskip(SKIP_1) | instid1(VALU_DEP_1)
	v_add_co_ci_u32_e64 v2, s1, 0, v2, s1
	v_cmp_gt_i32_e64 s1, 31, v6
	v_cndmask_b32_e64 v2, 0x7c00, v2, s1
	v_cmp_eq_u32_e64 s1, 0x40f, v6
	v_and_or_b32 v6, 0x8000, v14, v9
	s_delay_alu instid0(VALU_DEP_2) | instskip(SKIP_1) | instid1(SALU_CYCLE_1)
	v_cndmask_b32_e64 v2, v2, v18, s1
	s_mul_i32 s1, s9, 0x55c
	s_add_i32 s12, s12, s1
	s_delay_alu instid0(VALU_DEP_1) | instskip(SKIP_1) | instid1(VALU_DEP_1)
	v_and_or_b32 v2, 0x8000, v3, v2
	v_and_b32_e32 v3, 0xffff, v6
	v_lshl_or_b32 v2, v2, 16, v3
	global_store_b32 v[0:1], v2, off
	ds_load_2addr_b32 v[2:3], v162 offset0:84 offset1:133
	v_add_co_u32 v0, s1, v0, s13
	s_delay_alu instid0(VALU_DEP_1)
	v_add_co_ci_u32_e64 v1, s1, s12, v1, s1
	s_waitcnt lgkmcnt(0)
	v_lshrrev_b32_e32 v26, 16, v3
	s_waitcnt vmcnt(7)
	v_mul_f16_e32 v6, v29, v3
	s_waitcnt vmcnt(6)
	s_delay_alu instid0(VALU_DEP_1) | instskip(NEXT) | instid1(VALU_DEP_1)
	v_fma_f16 v6, v32, v26, -v6
	v_cvt_f32_f16_e32 v6, v6
	s_delay_alu instid0(VALU_DEP_1) | instskip(NEXT) | instid1(VALU_DEP_1)
	v_cvt_f64_f32_e32 v[18:19], v6
	v_mul_f64 v[19:20], v[18:19], s[10:11]
	s_delay_alu instid0(VALU_DEP_1) | instskip(SKIP_2) | instid1(VALU_DEP_3)
	v_and_or_b32 v6, 0x1ff, v20, v19
	v_lshrrev_b32_e32 v9, 8, v20
	v_bfe_u32 v27, v20, 20, 11
	v_cmp_ne_u32_e64 s1, 0, v6
	s_delay_alu instid0(VALU_DEP_1) | instskip(NEXT) | instid1(VALU_DEP_1)
	v_cndmask_b32_e64 v6, 0, 1, s1
	v_and_or_b32 v18, 0xffe, v9, v6
	s_delay_alu instid0(VALU_DEP_4) | instskip(NEXT) | instid1(VALU_DEP_2)
	v_sub_nc_u32_e32 v6, 0x3f1, v27
	v_or_b32_e32 v9, 0x1000, v18
	s_delay_alu instid0(VALU_DEP_2) | instskip(SKIP_1) | instid1(VALU_DEP_2)
	v_med3_i32 v6, v6, 0, 13
	v_cmp_ne_u32_e64 s5, 0, v18
	v_lshrrev_b32_e32 v28, v6, v9
	s_delay_alu instid0(VALU_DEP_1) | instskip(NEXT) | instid1(VALU_DEP_1)
	v_lshlrev_b32_e32 v6, v6, v28
	v_cmp_ne_u32_e64 s1, v6, v9
	v_mul_f16_e32 v6, v30, v22
	scratch_load_b32 v30, off, off offset:360 ; 4-byte Folded Reload
	v_fmac_f16_e32 v6, v31, v5
	scratch_load_b32 v31, off, off offset:364 ; 4-byte Folded Reload
	v_cvt_f32_f16_e32 v5, v6
	s_delay_alu instid0(VALU_DEP_1) | instskip(NEXT) | instid1(VALU_DEP_1)
	v_cvt_f64_f32_e32 v[5:6], v5
	v_mul_f64 v[5:6], v[5:6], s[10:11]
	s_delay_alu instid0(VALU_DEP_1) | instskip(SKIP_1) | instid1(VALU_DEP_2)
	v_and_or_b32 v5, 0x1ff, v6, v5
	v_lshrrev_b32_e32 v9, 8, v6
	v_cmp_ne_u32_e64 s2, 0, v5
	s_delay_alu instid0(VALU_DEP_1) | instskip(NEXT) | instid1(VALU_DEP_1)
	v_cndmask_b32_e64 v5, 0, 1, s2
	v_and_or_b32 v5, 0xffe, v9, v5
	v_bfe_u32 v9, v6, 20, 11
	v_lshrrev_b32_e32 v6, 16, v6
	s_delay_alu instid0(VALU_DEP_3) | instskip(NEXT) | instid1(VALU_DEP_3)
	v_or_b32_e32 v19, 0x1000, v5
	v_sub_nc_u32_e32 v14, 0x3f1, v9
	v_add_nc_u32_e32 v9, 0xfffffc10, v9
	s_delay_alu instid0(VALU_DEP_2) | instskip(NEXT) | instid1(VALU_DEP_1)
	v_med3_i32 v14, v14, 0, 13
	v_lshrrev_b32_e32 v21, v14, v19
	s_delay_alu instid0(VALU_DEP_1) | instskip(NEXT) | instid1(VALU_DEP_1)
	v_lshlrev_b32_e32 v14, v14, v21
	v_cmp_ne_u32_e64 s2, v14, v19
	v_lshl_or_b32 v19, v9, 12, v5
	s_delay_alu instid0(VALU_DEP_2) | instskip(SKIP_1) | instid1(VALU_DEP_2)
	v_cndmask_b32_e64 v14, 0, 1, s2
	v_cmp_gt_i32_e64 s2, 1, v9
	v_or_b32_e32 v14, v21, v14
	s_delay_alu instid0(VALU_DEP_1) | instskip(NEXT) | instid1(VALU_DEP_1)
	v_cndmask_b32_e64 v14, v19, v14, s2
	v_and_b32_e32 v19, 7, v14
	v_lshrrev_b32_e32 v14, 2, v14
	s_delay_alu instid0(VALU_DEP_2) | instskip(SKIP_4) | instid1(VALU_DEP_4)
	v_cmp_lt_i32_e64 s2, 5, v19
	v_cmp_eq_u32_e64 s3, 3, v19
	v_cndmask_b32_e64 v19, 0, 1, s0
	v_cmp_ne_u32_e64 s0, 0, v5
	v_add_nc_u32_e32 v5, 0xfffffc10, v24
	s_or_b32 s2, s3, s2
	s_delay_alu instid0(VALU_DEP_3) | instskip(SKIP_1) | instid1(VALU_DEP_3)
	v_or_b32_e32 v19, v25, v19
	v_add_co_ci_u32_e64 v14, s2, 0, v14, s2
	v_lshl_or_b32 v21, v5, 12, v23
	v_cmp_gt_i32_e64 s4, 1, v5
	v_cmp_gt_i32_e64 s2, 31, v9
	v_cmp_ne_u32_e64 s3, 0, v23
	s_delay_alu instid0(VALU_DEP_3) | instskip(SKIP_1) | instid1(VALU_DEP_4)
	v_cndmask_b32_e64 v19, v21, v19, s4
	v_cndmask_b32_e64 v21, 0, 1, s0
	;; [unrolled: 1-line block ×3, first 2 shown]
	v_cmp_eq_u32_e64 s0, 0x40f, v9
	s_delay_alu instid0(VALU_DEP_3) | instskip(NEXT) | instid1(VALU_DEP_1)
	v_lshl_or_b32 v21, v21, 9, 0x7c00
	v_cndmask_b32_e64 v9, v14, v21, s0
	v_and_b32_e32 v14, 7, v19
	s_delay_alu instid0(VALU_DEP_2) | instskip(NEXT) | instid1(VALU_DEP_2)
	v_and_or_b32 v6, 0x8000, v6, v9
	v_cmp_lt_i32_e64 s0, 5, v14
	v_cmp_eq_u32_e64 s2, 3, v14
	v_lshrrev_b32_e32 v14, 2, v19
	v_cndmask_b32_e64 v19, 0, 1, s3
	v_and_b32_e32 v6, 0xffff, v6
	s_delay_alu instid0(VALU_DEP_4)
	s_or_b32 s0, s2, s0
	s_delay_alu instid0(VALU_DEP_3) | instid1(SALU_CYCLE_1)
	v_add_co_ci_u32_e64 v14, s0, 0, v14, s0
	v_cmp_gt_i32_e64 s0, 31, v5
	v_lshl_or_b32 v19, v19, 9, 0x7c00
	s_delay_alu instid0(VALU_DEP_2) | instskip(SKIP_1) | instid1(VALU_DEP_1)
	v_cndmask_b32_e64 v14, 0x7c00, v14, s0
	v_cmp_eq_u32_e64 s0, 0x40f, v5
	v_cndmask_b32_e64 v5, v14, v19, s0
	s_delay_alu instid0(VALU_DEP_1) | instskip(NEXT) | instid1(VALU_DEP_1)
	v_and_or_b32 v5, 0x8000, v13, v5
	v_lshl_or_b32 v5, v5, 16, v6
	global_store_b32 v[0:1], v5, off
	ds_load_2addr_b32 v[5:6], v222 offset0:92 offset1:141
	v_add_co_u32 v0, s0, v0, s13
	s_delay_alu instid0(VALU_DEP_1)
	v_add_co_ci_u32_e64 v1, s0, s12, v1, s0
	s_waitcnt lgkmcnt(0)
	v_lshrrev_b32_e32 v9, 16, v5
	s_waitcnt vmcnt(1)
	v_mul_f16_e32 v13, v30, v5
	s_waitcnt vmcnt(0)
	s_delay_alu instid0(VALU_DEP_1)
	v_fma_f16 v13, v31, v9, -v13
	v_mul_f16_e32 v9, v30, v9
	scratch_load_b32 v30, off, off offset:328 ; 4-byte Folded Reload
	v_cvt_f32_f16_e32 v13, v13
	v_fmac_f16_e32 v9, v31, v5
	scratch_load_b32 v31, off, off offset:332 ; 4-byte Folded Reload
	v_cvt_f64_f32_e32 v[13:14], v13
	v_cvt_f32_f16_e32 v5, v9
	s_delay_alu instid0(VALU_DEP_2) | instskip(NEXT) | instid1(VALU_DEP_1)
	v_mul_f64 v[13:14], v[13:14], s[10:11]
	v_and_or_b32 v13, 0x1ff, v14, v13
	v_lshrrev_b32_e32 v19, 8, v14
	s_delay_alu instid0(VALU_DEP_2) | instskip(NEXT) | instid1(VALU_DEP_1)
	v_cmp_ne_u32_e64 s0, 0, v13
	v_cndmask_b32_e64 v13, 0, 1, s0
	s_delay_alu instid0(VALU_DEP_1) | instskip(SKIP_1) | instid1(VALU_DEP_2)
	v_and_or_b32 v13, 0xffe, v19, v13
	v_bfe_u32 v19, v14, 20, 11
	v_or_b32_e32 v22, 0x1000, v13
	s_delay_alu instid0(VALU_DEP_2) | instskip(SKIP_1) | instid1(VALU_DEP_2)
	v_sub_nc_u32_e32 v21, 0x3f1, v19
	v_add_nc_u32_e32 v19, 0xfffffc10, v19
	v_med3_i32 v21, v21, 0, 13
	s_delay_alu instid0(VALU_DEP_1) | instskip(NEXT) | instid1(VALU_DEP_1)
	v_lshrrev_b32_e32 v23, v21, v22
	v_lshlrev_b32_e32 v21, v21, v23
	s_delay_alu instid0(VALU_DEP_1) | instskip(SKIP_1) | instid1(VALU_DEP_1)
	v_cmp_ne_u32_e64 s0, v21, v22
	v_cvt_f64_f32_e32 v[21:22], v7
	v_mul_f64 v[21:22], v[21:22], s[10:11]
	s_delay_alu instid0(VALU_DEP_1) | instskip(SKIP_1) | instid1(VALU_DEP_2)
	v_and_or_b32 v7, 0x1ff, v22, v21
	v_lshrrev_b32_e32 v16, 8, v22
	v_cmp_ne_u32_e64 s2, 0, v7
	s_delay_alu instid0(VALU_DEP_1) | instskip(NEXT) | instid1(VALU_DEP_1)
	v_cndmask_b32_e64 v7, 0, 1, s2
	v_and_or_b32 v7, 0xffe, v16, v7
	v_bfe_u32 v16, v22, 20, 11
	s_delay_alu instid0(VALU_DEP_2) | instskip(NEXT) | instid1(VALU_DEP_2)
	v_or_b32_e32 v24, 0x1000, v7
	v_sub_nc_u32_e32 v21, 0x3f1, v16
	v_add_nc_u32_e32 v16, 0xfffffc10, v16
	v_cmp_ne_u32_e64 s4, 0, v7
	s_delay_alu instid0(VALU_DEP_3) | instskip(NEXT) | instid1(VALU_DEP_1)
	v_med3_i32 v21, v21, 0, 13
	v_lshrrev_b32_e32 v25, v21, v24
	s_delay_alu instid0(VALU_DEP_1) | instskip(NEXT) | instid1(VALU_DEP_1)
	v_lshlrev_b32_e32 v21, v21, v25
	v_cmp_ne_u32_e64 s2, v21, v24
	v_lshl_or_b32 v24, v16, 12, v7
	v_cndmask_b32_e64 v7, 0, 1, vcc_lo
	v_cmp_gt_i32_e32 vcc_lo, 1, v15
	s_delay_alu instid0(VALU_DEP_4) | instskip(SKIP_1) | instid1(VALU_DEP_4)
	v_cndmask_b32_e64 v21, 0, 1, s2
	v_cmp_gt_i32_e64 s2, 1, v16
	v_or_b32_e32 v7, v17, v7
	v_lshl_or_b32 v17, v15, 12, v11
	s_delay_alu instid0(VALU_DEP_4) | instskip(NEXT) | instid1(VALU_DEP_2)
	v_or_b32_e32 v21, v25, v21
	v_cndmask_b32_e32 v7, v17, v7, vcc_lo
	s_delay_alu instid0(VALU_DEP_2) | instskip(NEXT) | instid1(VALU_DEP_1)
	v_cndmask_b32_e64 v21, v24, v21, s2
	v_and_b32_e32 v24, 7, v21
	v_lshrrev_b32_e32 v17, 2, v21
	v_cndmask_b32_e64 v21, 0, 1, s4
	s_delay_alu instid0(VALU_DEP_3) | instskip(SKIP_1) | instid1(VALU_DEP_3)
	v_cmp_lt_i32_e64 s2, 5, v24
	v_cmp_eq_u32_e64 s3, 3, v24
	v_lshl_or_b32 v21, v21, 9, 0x7c00
	s_delay_alu instid0(VALU_DEP_2) | instskip(SKIP_3) | instid1(VALU_DEP_3)
	s_or_b32 vcc_lo, s3, s2
	v_cmp_ne_u32_e64 s3, 0, v11
	v_add_co_ci_u32_e32 v17, vcc_lo, 0, v17, vcc_lo
	v_cmp_gt_i32_e32 vcc_lo, 31, v16
	v_cndmask_b32_e64 v11, 0, 1, s3
	s_delay_alu instid0(VALU_DEP_3) | instskip(SKIP_1) | instid1(VALU_DEP_3)
	v_cndmask_b32_e32 v17, 0x7c00, v17, vcc_lo
	v_cmp_eq_u32_e32 vcc_lo, 0x40f, v16
	v_lshl_or_b32 v11, v11, 9, 0x7c00
	s_delay_alu instid0(VALU_DEP_3)
	v_dual_cndmask_b32 v16, v17, v21 :: v_dual_and_b32 v21, 7, v7
	v_lshrrev_b32_e32 v7, 2, v7
	v_lshrrev_b32_e32 v17, 16, v22
	scratch_load_b32 v22, off, off offset:336 ; 4-byte Folded Reload
	v_cmp_lt_i32_e32 vcc_lo, 5, v21
	v_cmp_eq_u32_e64 s2, 3, v21
	s_delay_alu instid0(VALU_DEP_1) | instskip(SKIP_2) | instid1(VALU_DEP_2)
	s_or_b32 vcc_lo, s2, vcc_lo
	v_add_co_ci_u32_e32 v7, vcc_lo, 0, v7, vcc_lo
	v_cmp_gt_i32_e32 vcc_lo, 31, v15
	v_cndmask_b32_e32 v7, 0x7c00, v7, vcc_lo
	v_cmp_eq_u32_e32 vcc_lo, 0x40f, v15
	s_delay_alu instid0(VALU_DEP_2) | instskip(SKIP_2) | instid1(VALU_DEP_2)
	v_cndmask_b32_e32 v7, v7, v11, vcc_lo
	v_lshrrev_b32_e32 v11, 16, v12
	v_and_or_b32 v12, 0x8000, v17, v16
	v_and_or_b32 v7, 0x8000, v11, v7
	s_delay_alu instid0(VALU_DEP_2) | instskip(NEXT) | instid1(VALU_DEP_1)
	v_and_b32_e32 v11, 0xffff, v12
	v_lshl_or_b32 v7, v7, 16, v11
	global_store_b32 v[0:1], v7, off
	v_mul_f16_e32 v7, v29, v26
	scratch_load_b32 v29, off, off offset:344 ; 4-byte Folded Reload
	v_add_co_u32 v0, vcc_lo, v0, s13
	v_add_co_ci_u32_e32 v1, vcc_lo, s12, v1, vcc_lo
	v_fmac_f16_e32 v7, v32, v3
	scratch_load_b32 v32, off, off offset:348 ; 4-byte Folded Reload
	v_cvt_f32_f16_e32 v3, v7
	s_delay_alu instid0(VALU_DEP_1) | instskip(NEXT) | instid1(VALU_DEP_1)
	v_cvt_f64_f32_e32 v[11:12], v3
	v_mul_f64 v[11:12], v[11:12], s[10:11]
	s_delay_alu instid0(VALU_DEP_1) | instskip(SKIP_1) | instid1(VALU_DEP_2)
	v_and_or_b32 v3, 0x1ff, v12, v11
	v_lshrrev_b32_e32 v7, 8, v12
	v_cmp_ne_u32_e32 vcc_lo, 0, v3
	v_cndmask_b32_e64 v3, 0, 1, vcc_lo
	s_delay_alu instid0(VALU_DEP_1) | instskip(SKIP_1) | instid1(VALU_DEP_2)
	v_and_or_b32 v3, 0xffe, v7, v3
	v_bfe_u32 v7, v12, 20, 11
	v_or_b32_e32 v15, 0x1000, v3
	s_delay_alu instid0(VALU_DEP_2) | instskip(SKIP_2) | instid1(VALU_DEP_3)
	v_sub_nc_u32_e32 v11, 0x3f1, v7
	v_add_nc_u32_e32 v7, 0xfffffc10, v7
	v_cmp_ne_u32_e64 s2, 0, v3
	v_med3_i32 v11, v11, 0, 13
	s_delay_alu instid0(VALU_DEP_1) | instskip(NEXT) | instid1(VALU_DEP_1)
	v_lshrrev_b32_e32 v16, v11, v15
	v_lshlrev_b32_e32 v11, v11, v16
	s_delay_alu instid0(VALU_DEP_1) | instskip(SKIP_3) | instid1(VALU_DEP_2)
	v_cmp_ne_u32_e32 vcc_lo, v11, v15
	v_lshl_or_b32 v15, v7, 12, v3
	v_cndmask_b32_e64 v11, 0, 1, vcc_lo
	v_cmp_gt_i32_e32 vcc_lo, 1, v7
	v_or_b32_e32 v11, v16, v11
	v_add_nc_u32_e32 v16, 0xfffffc10, v27
	s_delay_alu instid0(VALU_DEP_2) | instskip(SKIP_1) | instid1(VALU_DEP_3)
	v_cndmask_b32_e32 v11, v15, v11, vcc_lo
	v_cndmask_b32_e64 v15, 0, 1, s1
	v_lshl_or_b32 v17, v16, 12, v18
	v_cmp_gt_i32_e32 vcc_lo, 1, v16
	s_delay_alu instid0(VALU_DEP_3) | instskip(SKIP_3) | instid1(VALU_DEP_2)
	v_or_b32_e32 v15, v28, v15
	scratch_load_b32 v28, off, off offset:320 ; 4-byte Folded Reload
	v_cndmask_b32_e32 v15, v17, v15, vcc_lo
	v_and_b32_e32 v17, 7, v11
	v_and_b32_e32 v3, 7, v15
	s_delay_alu instid0(VALU_DEP_2) | instskip(SKIP_1) | instid1(VALU_DEP_3)
	v_cmp_lt_i32_e32 vcc_lo, 5, v17
	v_cmp_eq_u32_e64 s1, 3, v17
	v_cmp_lt_i32_e64 s3, 5, v3
	v_cmp_eq_u32_e64 s4, 3, v3
	v_lshrrev_b32_e32 v3, 2, v11
	s_delay_alu instid0(VALU_DEP_4) | instskip(SKIP_1) | instid1(VALU_DEP_2)
	s_or_b32 vcc_lo, s1, vcc_lo
	v_cndmask_b32_e64 v11, 0, 1, s2
	v_add_co_ci_u32_e32 v3, vcc_lo, 0, v3, vcc_lo
	v_cmp_gt_i32_e32 vcc_lo, 31, v7
	s_delay_alu instid0(VALU_DEP_3) | instskip(NEXT) | instid1(VALU_DEP_3)
	v_lshl_or_b32 v11, v11, 9, 0x7c00
	v_cndmask_b32_e32 v3, 0x7c00, v3, vcc_lo
	v_cmp_eq_u32_e32 vcc_lo, 0x40f, v7
	v_lshrrev_b32_e32 v7, 16, v12
	v_cndmask_b32_e64 v12, 0, 1, s5
	v_cmp_ne_u32_e64 s5, 0, v13
	v_cndmask_b32_e32 v3, v3, v11, vcc_lo
	v_lshrrev_b32_e32 v11, 2, v15
	s_or_b32 vcc_lo, s4, s3
	v_lshl_or_b32 v12, v12, 9, 0x7c00
	s_delay_alu instid0(VALU_DEP_3) | instskip(NEXT) | instid1(VALU_DEP_3)
	v_and_or_b32 v3, 0x8000, v7, v3
	v_add_co_ci_u32_e32 v11, vcc_lo, 0, v11, vcc_lo
	v_cmp_gt_i32_e32 vcc_lo, 31, v16
	s_delay_alu instid0(VALU_DEP_3) | instskip(NEXT) | instid1(VALU_DEP_3)
	v_and_b32_e32 v3, 0xffff, v3
	v_cndmask_b32_e32 v11, 0x7c00, v11, vcc_lo
	v_cmp_eq_u32_e32 vcc_lo, 0x40f, v16
	s_delay_alu instid0(VALU_DEP_2) | instskip(SKIP_3) | instid1(VALU_DEP_3)
	v_cndmask_b32_e32 v11, v11, v12, vcc_lo
	v_lshrrev_b32_e32 v12, 16, v20
	v_add_co_u32 v20, vcc_lo, v0, s13
	v_add_co_ci_u32_e32 v21, vcc_lo, s12, v1, vcc_lo
	v_and_or_b32 v7, 0x8000, v12, v11
	s_delay_alu instid0(VALU_DEP_1)
	v_lshl_or_b32 v3, v7, 16, v3
	global_store_b32 v[0:1], v3, off
	ds_load_2addr_b32 v[0:1], v195 offset0:130 offset1:179
	s_waitcnt lgkmcnt(0)
	v_lshrrev_b32_e32 v18, 16, v1
	s_waitcnt vmcnt(2)
	v_mul_f16_e32 v3, v29, v1
	s_waitcnt vmcnt(1)
	s_delay_alu instid0(VALU_DEP_1) | instskip(NEXT) | instid1(VALU_DEP_1)
	v_fma_f16 v3, v32, v18, -v3
	v_cvt_f32_f16_e32 v3, v3
	s_delay_alu instid0(VALU_DEP_1) | instskip(NEXT) | instid1(VALU_DEP_1)
	v_cvt_f64_f32_e32 v[11:12], v3
	v_mul_f64 v[11:12], v[11:12], s[10:11]
	s_delay_alu instid0(VALU_DEP_1) | instskip(SKIP_2) | instid1(VALU_DEP_3)
	v_and_or_b32 v3, 0x1ff, v12, v11
	v_lshrrev_b32_e32 v7, 8, v12
	v_bfe_u32 v11, v12, 20, 11
	v_cmp_ne_u32_e32 vcc_lo, 0, v3
	v_cndmask_b32_e64 v3, 0, 1, vcc_lo
	s_delay_alu instid0(VALU_DEP_1) | instskip(NEXT) | instid1(VALU_DEP_4)
	v_and_or_b32 v7, 0xffe, v7, v3
	v_sub_nc_u32_e32 v3, 0x3f1, v11
	s_delay_alu instid0(VALU_DEP_2) | instskip(NEXT) | instid1(VALU_DEP_2)
	v_or_b32_e32 v15, 0x1000, v7
	v_med3_i32 v3, v3, 0, 13
	s_delay_alu instid0(VALU_DEP_1) | instskip(NEXT) | instid1(VALU_DEP_1)
	v_lshrrev_b32_e32 v17, v3, v15
	v_lshlrev_b32_e32 v3, v3, v17
	s_delay_alu instid0(VALU_DEP_1) | instskip(SKIP_3) | instid1(VALU_DEP_1)
	v_cmp_ne_u32_e32 vcc_lo, v3, v15
	scratch_load_b32 v15, off, off offset:340 ; 4-byte Folded Reload
	v_lshrrev_b32_e32 v3, 16, v10
	s_waitcnt vmcnt(0)
	v_mul_f16_e32 v16, v15, v3
	v_mul_f16_e32 v15, v15, v10
	s_delay_alu instid0(VALU_DEP_2) | instskip(SKIP_1) | instid1(VALU_DEP_3)
	v_fmac_f16_e32 v16, v22, v10
	v_cvt_f64_f32_e32 v[9:10], v5
	v_fma_f16 v3, v22, v3, -v15
	s_delay_alu instid0(VALU_DEP_1) | instskip(NEXT) | instid1(VALU_DEP_3)
	v_cvt_f32_f16_e32 v3, v3
	v_mul_f64 v[9:10], v[9:10], s[10:11]
	s_delay_alu instid0(VALU_DEP_1) | instskip(SKIP_1) | instid1(VALU_DEP_2)
	v_and_or_b32 v5, 0x1ff, v10, v9
	v_lshrrev_b32_e32 v9, 8, v10
	v_cmp_ne_u32_e64 s1, 0, v5
	s_delay_alu instid0(VALU_DEP_1) | instskip(NEXT) | instid1(VALU_DEP_1)
	v_cndmask_b32_e64 v5, 0, 1, s1
	v_and_or_b32 v5, 0xffe, v9, v5
	v_bfe_u32 v9, v10, 20, 11
	s_delay_alu instid0(VALU_DEP_2) | instskip(NEXT) | instid1(VALU_DEP_2)
	v_or_b32_e32 v22, 0x1000, v5
	v_sub_nc_u32_e32 v15, 0x3f1, v9
	v_add_nc_u32_e32 v9, 0xfffffc10, v9
	v_cmp_ne_u32_e64 s2, 0, v5
	s_delay_alu instid0(VALU_DEP_3) | instskip(NEXT) | instid1(VALU_DEP_1)
	v_med3_i32 v15, v15, 0, 13
	v_lshrrev_b32_e32 v24, v15, v22
	s_delay_alu instid0(VALU_DEP_1) | instskip(NEXT) | instid1(VALU_DEP_1)
	v_lshlrev_b32_e32 v15, v15, v24
	v_cmp_ne_u32_e64 s1, v15, v22
	v_lshl_or_b32 v22, v9, 12, v5
	s_delay_alu instid0(VALU_DEP_2) | instskip(SKIP_1) | instid1(VALU_DEP_2)
	v_cndmask_b32_e64 v15, 0, 1, s1
	v_cmp_gt_i32_e64 s1, 1, v9
	v_or_b32_e32 v15, v24, v15
	s_delay_alu instid0(VALU_DEP_1) | instskip(SKIP_2) | instid1(VALU_DEP_2)
	v_cndmask_b32_e64 v15, v22, v15, s1
	v_cndmask_b32_e64 v22, 0, 1, s0
	v_cmp_gt_i32_e64 s0, 1, v19
	v_or_b32_e32 v22, v23, v22
	v_lshl_or_b32 v23, v19, 12, v13
	v_cndmask_b32_e64 v13, 0, 1, s2
	s_delay_alu instid0(VALU_DEP_2) | instskip(SKIP_1) | instid1(VALU_DEP_3)
	v_cndmask_b32_e64 v22, v23, v22, s0
	v_and_b32_e32 v23, 7, v15
	v_lshl_or_b32 v13, v13, 9, 0x7c00
	s_delay_alu instid0(VALU_DEP_3) | instskip(NEXT) | instid1(VALU_DEP_3)
	v_and_b32_e32 v5, 7, v22
	v_cmp_lt_i32_e64 s0, 5, v23
	v_cmp_eq_u32_e64 s1, 3, v23
	s_delay_alu instid0(VALU_DEP_3) | instskip(SKIP_2) | instid1(VALU_DEP_4)
	v_cmp_lt_i32_e64 s3, 5, v5
	v_cmp_eq_u32_e64 s4, 3, v5
	v_lshrrev_b32_e32 v5, 2, v15
	s_or_b32 s0, s1, s0
	s_delay_alu instid0(VALU_DEP_1) | instid1(SALU_CYCLE_1)
	v_add_co_ci_u32_e64 v5, s0, 0, v5, s0
	v_cmp_gt_i32_e64 s0, 31, v9
	s_delay_alu instid0(VALU_DEP_1) | instskip(SKIP_3) | instid1(VALU_DEP_3)
	v_cndmask_b32_e64 v5, 0x7c00, v5, s0
	v_cmp_eq_u32_e64 s0, 0x40f, v9
	v_lshrrev_b32_e32 v9, 16, v10
	v_lshrrev_b32_e32 v10, 2, v22
	v_cndmask_b32_e64 v5, v5, v13, s0
	s_or_b32 s0, s4, s3
	v_cndmask_b32_e64 v13, 0, 1, s5
	s_delay_alu instid0(VALU_DEP_3) | instskip(SKIP_2) | instid1(VALU_DEP_4)
	v_add_co_ci_u32_e64 v10, s0, 0, v10, s0
	v_cmp_gt_i32_e64 s0, 31, v19
	v_and_or_b32 v5, 0x8000, v9, v5
	v_lshl_or_b32 v13, v13, 9, 0x7c00
	s_delay_alu instid0(VALU_DEP_3) | instskip(SKIP_1) | instid1(VALU_DEP_4)
	v_cndmask_b32_e64 v10, 0x7c00, v10, s0
	v_cmp_eq_u32_e64 s0, 0x40f, v19
	v_and_b32_e32 v5, 0xffff, v5
	s_delay_alu instid0(VALU_DEP_2) | instskip(SKIP_2) | instid1(VALU_DEP_1)
	v_cndmask_b32_e64 v10, v10, v13, s0
	v_lshrrev_b32_e32 v13, 16, v14
	v_add_co_u32 v22, s0, v20, s13
	v_add_co_ci_u32_e64 v23, s0, s12, v21, s0
	s_delay_alu instid0(VALU_DEP_3) | instskip(NEXT) | instid1(VALU_DEP_1)
	v_and_or_b32 v9, 0x8000, v13, v10
	v_lshl_or_b32 v5, v9, 16, v5
	ds_load_2addr_b32 v[9:10], v186 offset0:10 offset1:59
	global_store_b32 v[20:21], v5, off
	scratch_load_b32 v21, off, off offset:324 ; 4-byte Folded Reload
	s_waitcnt lgkmcnt(0)
	v_lshrrev_b32_e32 v24, 16, v9
	v_mul_f16_e32 v5, v31, v9
	s_delay_alu instid0(VALU_DEP_1) | instskip(NEXT) | instid1(VALU_DEP_1)
	v_fma_f16 v5, v30, v24, -v5
	v_cvt_f32_f16_e32 v5, v5
	s_delay_alu instid0(VALU_DEP_1) | instskip(NEXT) | instid1(VALU_DEP_1)
	v_cvt_f64_f32_e32 v[13:14], v5
	v_mul_f64 v[14:15], v[13:14], s[10:11]
	s_delay_alu instid0(VALU_DEP_1) | instskip(SKIP_3) | instid1(VALU_DEP_4)
	v_and_or_b32 v5, 0x1ff, v15, v14
	v_lshrrev_b32_e32 v13, 8, v15
	v_bfe_u32 v26, v15, 20, 11
	v_lshrrev_b32_e32 v15, 16, v15
	v_cmp_ne_u32_e64 s0, 0, v5
	s_delay_alu instid0(VALU_DEP_1) | instskip(NEXT) | instid1(VALU_DEP_1)
	v_cndmask_b32_e64 v5, 0, 1, s0
	v_and_or_b32 v25, 0xffe, v13, v5
	v_sub_nc_u32_e32 v5, 0x3f1, v26
	v_add_nc_u32_e32 v26, 0xfffffc10, v26
	s_delay_alu instid0(VALU_DEP_3) | instskip(NEXT) | instid1(VALU_DEP_3)
	v_or_b32_e32 v13, 0x1000, v25
	v_med3_i32 v5, v5, 0, 13
	s_delay_alu instid0(VALU_DEP_1) | instskip(NEXT) | instid1(VALU_DEP_1)
	v_lshrrev_b32_e32 v27, v5, v13
	v_lshlrev_b32_e32 v5, v5, v27
	s_delay_alu instid0(VALU_DEP_1) | instskip(SKIP_1) | instid1(VALU_DEP_1)
	v_cmp_ne_u32_e64 s1, v5, v13
	v_cvt_f64_f32_e32 v[13:14], v3
	v_mul_f64 v[13:14], v[13:14], s[10:11]
	s_delay_alu instid0(VALU_DEP_1) | instskip(SKIP_2) | instid1(VALU_DEP_3)
	v_and_or_b32 v3, 0x1ff, v14, v13
	v_lshrrev_b32_e32 v5, 8, v14
	v_bfe_u32 v13, v14, 20, 11
	v_cmp_ne_u32_e64 s0, 0, v3
	s_delay_alu instid0(VALU_DEP_1) | instskip(NEXT) | instid1(VALU_DEP_1)
	v_cndmask_b32_e64 v3, 0, 1, s0
	v_and_or_b32 v5, 0xffe, v5, v3
	s_delay_alu instid0(VALU_DEP_4) | instskip(SKIP_1) | instid1(VALU_DEP_3)
	v_sub_nc_u32_e32 v3, 0x3f1, v13
	v_add_nc_u32_e32 v13, 0xfffffc10, v13
	v_or_b32_e32 v19, 0x1000, v5
	s_delay_alu instid0(VALU_DEP_3) | instskip(SKIP_1) | instid1(VALU_DEP_2)
	v_med3_i32 v3, v3, 0, 13
	v_cmp_ne_u32_e64 s5, 0, v5
	v_lshrrev_b32_e32 v20, v3, v19
	s_delay_alu instid0(VALU_DEP_1) | instskip(NEXT) | instid1(VALU_DEP_1)
	v_lshlrev_b32_e32 v3, v3, v20
	v_cmp_ne_u32_e64 s0, v3, v19
	v_lshrrev_b32_e32 v19, 16, v8
	s_waitcnt vmcnt(0)
	s_delay_alu instid0(VALU_DEP_1) | instskip(SKIP_1) | instid1(VALU_DEP_2)
	v_mul_f16_e32 v3, v21, v19
	v_mul_f16_e32 v21, v21, v8
	v_fmac_f16_e32 v3, v28, v8
	v_mul_f16_e32 v8, v29, v18
	s_delay_alu instid0(VALU_DEP_3) | instskip(NEXT) | instid1(VALU_DEP_3)
	v_fma_f16 v28, v28, v19, -v21
	v_cvt_f32_f16_e32 v3, v3
	s_delay_alu instid0(VALU_DEP_3) | instskip(SKIP_2) | instid1(VALU_DEP_1)
	v_fmac_f16_e32 v8, v32, v1
	scratch_load_b32 v32, off, off offset:300 ; 4-byte Folded Reload
	v_cvt_f32_f16_e32 v1, v8
	v_cvt_f64_f32_e32 v[18:19], v1
	s_delay_alu instid0(VALU_DEP_1) | instskip(NEXT) | instid1(VALU_DEP_1)
	v_mul_f64 v[18:19], v[18:19], s[10:11]
	v_and_or_b32 v1, 0x1ff, v19, v18
	v_lshrrev_b32_e32 v8, 8, v19
	s_delay_alu instid0(VALU_DEP_2) | instskip(NEXT) | instid1(VALU_DEP_1)
	v_cmp_ne_u32_e64 s2, 0, v1
	v_cndmask_b32_e64 v1, 0, 1, s2
	s_delay_alu instid0(VALU_DEP_1) | instskip(SKIP_1) | instid1(VALU_DEP_2)
	v_and_or_b32 v1, 0xffe, v8, v1
	v_bfe_u32 v8, v19, 20, 11
	v_or_b32_e32 v21, 0x1000, v1
	s_delay_alu instid0(VALU_DEP_2) | instskip(SKIP_1) | instid1(VALU_DEP_2)
	v_sub_nc_u32_e32 v18, 0x3f1, v8
	v_add_nc_u32_e32 v8, 0xfffffc10, v8
	v_med3_i32 v18, v18, 0, 13
	s_delay_alu instid0(VALU_DEP_1) | instskip(NEXT) | instid1(VALU_DEP_1)
	v_lshrrev_b32_e32 v29, v18, v21
	v_lshlrev_b32_e32 v18, v18, v29
	s_delay_alu instid0(VALU_DEP_1) | instskip(SKIP_1) | instid1(VALU_DEP_2)
	v_cmp_ne_u32_e64 s2, v18, v21
	v_lshl_or_b32 v21, v8, 12, v1
	v_cndmask_b32_e64 v18, 0, 1, s2
	v_cmp_gt_i32_e64 s2, 1, v8
	s_delay_alu instid0(VALU_DEP_2) | instskip(NEXT) | instid1(VALU_DEP_1)
	v_or_b32_e32 v18, v29, v18
	v_cndmask_b32_e64 v18, v21, v18, s2
	s_delay_alu instid0(VALU_DEP_1) | instskip(NEXT) | instid1(VALU_DEP_1)
	v_and_b32_e32 v21, 7, v18
	v_cmp_lt_i32_e64 s2, 5, v21
	v_cmp_eq_u32_e64 s3, 3, v21
	v_cndmask_b32_e64 v21, 0, 1, vcc_lo
	v_cmp_ne_u32_e32 vcc_lo, 0, v1
	v_add_nc_u32_e32 v1, 0xfffffc10, v11
	s_delay_alu instid0(VALU_DEP_4) | instskip(NEXT) | instid1(VALU_DEP_3)
	s_or_b32 s2, s3, s2
	v_or_b32_e32 v17, v17, v21
	v_cmp_ne_u32_e64 s3, 0, v7
	s_delay_alu instid0(VALU_DEP_3) | instskip(SKIP_1) | instid1(VALU_DEP_1)
	v_lshl_or_b32 v11, v1, 12, v7
	v_cmp_gt_i32_e64 s4, 1, v1
	v_cndmask_b32_e64 v11, v11, v17, s4
	v_lshrrev_b32_e32 v17, 2, v18
	v_cndmask_b32_e64 v18, 0, 1, vcc_lo
	v_cmp_eq_u32_e32 vcc_lo, 0x40f, v8
	s_delay_alu instid0(VALU_DEP_4) | instskip(NEXT) | instid1(VALU_DEP_4)
	v_lshrrev_b32_e32 v7, 2, v11
	v_add_co_ci_u32_e64 v17, s2, 0, v17, s2
	v_cmp_gt_i32_e64 s2, 31, v8
	v_lshl_or_b32 v18, v18, 9, 0x7c00
	s_delay_alu instid0(VALU_DEP_2) | instskip(NEXT) | instid1(VALU_DEP_1)
	v_cndmask_b32_e64 v17, 0x7c00, v17, s2
	v_dual_cndmask_b32 v8, v17, v18 :: v_dual_and_b32 v17, 7, v11
	v_cndmask_b32_e64 v11, 0, 1, s3
	s_delay_alu instid0(VALU_DEP_2) | instskip(SKIP_1) | instid1(VALU_DEP_3)
	v_cmp_lt_i32_e32 vcc_lo, 5, v17
	v_cmp_eq_u32_e64 s2, 3, v17
	v_lshl_or_b32 v11, v11, 9, 0x7c00
	v_lshrrev_b32_e32 v17, 16, v19
	s_delay_alu instid0(VALU_DEP_3) | instskip(SKIP_2) | instid1(VALU_DEP_3)
	s_or_b32 vcc_lo, s2, vcc_lo
	v_add_co_ci_u32_e32 v7, vcc_lo, 0, v7, vcc_lo
	v_cmp_gt_i32_e32 vcc_lo, 31, v1
	v_and_or_b32 v8, 0x8000, v17, v8
	s_delay_alu instid0(VALU_DEP_3) | instskip(SKIP_1) | instid1(VALU_DEP_2)
	v_cndmask_b32_e32 v7, 0x7c00, v7, vcc_lo
	v_cmp_eq_u32_e32 vcc_lo, 0x40f, v1
	v_cndmask_b32_e32 v1, v7, v11, vcc_lo
	v_lshrrev_b32_e32 v7, 16, v12
	ds_load_2addr_b32 v[11:12], v253 offset0:136 offset1:185
	v_add_co_u32 v21, vcc_lo, v22, s13
	v_and_or_b32 v1, 0x8000, v7, v1
	v_and_b32_e32 v7, 0xffff, v8
	s_delay_alu instid0(VALU_DEP_1)
	v_lshl_or_b32 v1, v1, 16, v7
	global_store_b32 v[22:23], v1, off
	v_add_co_ci_u32_e32 v22, vcc_lo, s12, v23, vcc_lo
	s_waitcnt lgkmcnt(0)
	v_lshrrev_b32_e32 v19, 16, v11
	v_mul_f16_e32 v1, v34, v11
	s_delay_alu instid0(VALU_DEP_1)
	v_fma_f16 v1, v33, v19, -v1
	v_mul_f16_e32 v19, v34, v19
	scratch_load_b32 v34, off, off offset:268 ; 4-byte Folded Reload
	v_cvt_f32_f16_e32 v1, v1
	v_fmac_f16_e32 v19, v33, v11
	scratch_load_b32 v33, off, off offset:264 ; 4-byte Folded Reload
	v_cvt_f64_f32_e32 v[7:8], v1
	v_cvt_f32_f16_e32 v11, v19
	s_delay_alu instid0(VALU_DEP_2) | instskip(NEXT) | instid1(VALU_DEP_1)
	v_mul_f64 v[7:8], v[7:8], s[10:11]
	v_and_or_b32 v1, 0x1ff, v8, v7
	v_lshrrev_b32_e32 v7, 8, v8
	v_bfe_u32 v17, v8, 20, 11
	v_lshrrev_b32_e32 v8, 16, v8
	s_delay_alu instid0(VALU_DEP_4) | instskip(SKIP_1) | instid1(VALU_DEP_1)
	v_cmp_ne_u32_e32 vcc_lo, 0, v1
	v_cndmask_b32_e64 v1, 0, 1, vcc_lo
	v_and_or_b32 v7, 0xffe, v7, v1
	v_sub_nc_u32_e32 v1, 0x3f1, v17
	v_add_nc_u32_e32 v17, 0xfffffc10, v17
	s_delay_alu instid0(VALU_DEP_3) | instskip(NEXT) | instid1(VALU_DEP_3)
	v_or_b32_e32 v23, 0x1000, v7
	v_med3_i32 v1, v1, 0, 13
	s_delay_alu instid0(VALU_DEP_1) | instskip(NEXT) | instid1(VALU_DEP_1)
	v_lshrrev_b32_e32 v18, v1, v23
	v_lshlrev_b32_e32 v1, v1, v18
	s_delay_alu instid0(VALU_DEP_1) | instskip(SKIP_3) | instid1(VALU_DEP_1)
	v_cmp_ne_u32_e32 vcc_lo, v1, v23
	v_mul_f16_e32 v1, v31, v24
	scratch_load_b32 v31, off, off offset:296 ; 4-byte Folded Reload
	v_fmac_f16_e32 v1, v30, v9
	v_cvt_f32_f16_e32 v1, v1
	s_delay_alu instid0(VALU_DEP_1) | instskip(NEXT) | instid1(VALU_DEP_1)
	v_cvt_f64_f32_e32 v[23:24], v1
	v_mul_f64 v[23:24], v[23:24], s[10:11]
	s_delay_alu instid0(VALU_DEP_1) | instskip(SKIP_1) | instid1(VALU_DEP_2)
	v_and_or_b32 v1, 0x1ff, v24, v23
	v_lshrrev_b32_e32 v9, 8, v24
	v_cmp_ne_u32_e64 s2, 0, v1
	s_delay_alu instid0(VALU_DEP_1) | instskip(NEXT) | instid1(VALU_DEP_1)
	v_cndmask_b32_e64 v1, 0, 1, s2
	v_and_or_b32 v1, 0xffe, v9, v1
	v_bfe_u32 v9, v24, 20, 11
	s_delay_alu instid0(VALU_DEP_2) | instskip(NEXT) | instid1(VALU_DEP_2)
	v_or_b32_e32 v29, 0x1000, v1
	v_sub_nc_u32_e32 v23, 0x3f1, v9
	v_add_nc_u32_e32 v9, 0xfffffc10, v9
	v_cmp_ne_u32_e64 s4, 0, v1
	s_delay_alu instid0(VALU_DEP_3) | instskip(NEXT) | instid1(VALU_DEP_1)
	v_med3_i32 v23, v23, 0, 13
	v_lshrrev_b32_e32 v30, v23, v29
	s_delay_alu instid0(VALU_DEP_1) | instskip(NEXT) | instid1(VALU_DEP_1)
	v_lshlrev_b32_e32 v23, v23, v30
	v_cmp_ne_u32_e64 s2, v23, v29
	v_lshl_or_b32 v29, v9, 12, v1
	v_cndmask_b32_e64 v1, 0, 1, s1
	v_cmp_gt_i32_e64 s1, 1, v26
	s_delay_alu instid0(VALU_DEP_4) | instskip(SKIP_1) | instid1(VALU_DEP_4)
	v_cndmask_b32_e64 v23, 0, 1, s2
	v_cmp_gt_i32_e64 s2, 1, v9
	v_or_b32_e32 v1, v27, v1
	v_lshl_or_b32 v27, v26, 12, v25
	s_delay_alu instid0(VALU_DEP_4) | instskip(NEXT) | instid1(VALU_DEP_2)
	v_or_b32_e32 v23, v30, v23
	v_cndmask_b32_e64 v1, v27, v1, s1
	v_cndmask_b32_e64 v27, 0, 1, s4
	s_delay_alu instid0(VALU_DEP_3) | instskip(NEXT) | instid1(VALU_DEP_2)
	v_cndmask_b32_e64 v23, v29, v23, s2
	v_lshl_or_b32 v27, v27, 9, 0x7c00
	s_delay_alu instid0(VALU_DEP_2) | instskip(SKIP_1) | instid1(VALU_DEP_2)
	v_and_b32_e32 v29, 7, v23
	v_lshrrev_b32_e32 v23, 2, v23
	v_cmp_lt_i32_e64 s2, 5, v29
	v_cmp_eq_u32_e64 s3, 3, v29
	s_delay_alu instid0(VALU_DEP_1) | instskip(SKIP_3) | instid1(VALU_DEP_1)
	s_or_b32 s1, s3, s2
	v_cmp_ne_u32_e64 s3, 0, v25
	v_add_co_ci_u32_e64 v23, s1, 0, v23, s1
	v_cmp_gt_i32_e64 s1, 31, v9
	v_cndmask_b32_e64 v23, 0x7c00, v23, s1
	v_cmp_eq_u32_e64 s1, 0x40f, v9
	s_delay_alu instid0(VALU_DEP_1) | instskip(SKIP_3) | instid1(VALU_DEP_3)
	v_cndmask_b32_e64 v9, v23, v27, s1
	v_lshrrev_b32_e32 v23, 16, v24
	v_and_b32_e32 v24, 7, v1
	v_lshrrev_b32_e32 v1, 2, v1
	v_and_or_b32 v9, 0x8000, v23, v9
	s_delay_alu instid0(VALU_DEP_3) | instskip(SKIP_2) | instid1(VALU_DEP_4)
	v_cmp_lt_i32_e64 s1, 5, v24
	v_cmp_eq_u32_e64 s2, 3, v24
	v_cndmask_b32_e64 v24, 0, 1, s3
	v_and_b32_e32 v9, 0xffff, v9
	s_delay_alu instid0(VALU_DEP_3) | instskip(NEXT) | instid1(VALU_DEP_2)
	s_or_b32 s1, s2, s1
	v_lshl_or_b32 v24, v24, 9, 0x7c00
	v_add_co_ci_u32_e64 v1, s1, 0, v1, s1
	v_cmp_gt_i32_e64 s1, 31, v26
	s_mul_i32 s2, s9, 0xffffe09c
	s_delay_alu instid0(VALU_DEP_1) | instskip(SKIP_1) | instid1(VALU_DEP_1)
	v_cndmask_b32_e64 v1, 0x7c00, v1, s1
	v_cmp_eq_u32_e64 s1, 0x40f, v26
	v_cndmask_b32_e64 v1, v1, v24, s1
	s_mul_hi_u32 s1, s8, 0xffffe09c
	s_delay_alu instid0(SALU_CYCLE_1) | instskip(SKIP_1) | instid1(VALU_DEP_1)
	s_sub_i32 s9, s1, s8
	s_mulk_i32 s8, 0xe09c
	v_and_or_b32 v1, 0x8000, v15, v1
	s_add_i32 s9, s9, s2
	s_delay_alu instid0(VALU_DEP_1) | instskip(SKIP_3) | instid1(VALU_DEP_1)
	v_lshl_or_b32 v1, v1, 16, v9
	global_store_b32 v[21:22], v1, off
	v_cvt_f32_f16_e32 v1, v16
	v_add_co_u32 v21, s1, v21, s8
	v_add_co_ci_u32_e64 v22, s1, s9, v22, s1
	s_delay_alu instid0(VALU_DEP_3) | instskip(NEXT) | instid1(VALU_DEP_1)
	v_cvt_f64_f32_e32 v[15:16], v1
	v_mul_f64 v[15:16], v[15:16], s[10:11]
	s_delay_alu instid0(VALU_DEP_1) | instskip(SKIP_1) | instid1(VALU_DEP_2)
	v_and_or_b32 v1, 0x1ff, v16, v15
	v_lshrrev_b32_e32 v9, 8, v16
	v_cmp_ne_u32_e64 s1, 0, v1
	s_delay_alu instid0(VALU_DEP_1) | instskip(NEXT) | instid1(VALU_DEP_1)
	v_cndmask_b32_e64 v1, 0, 1, s1
	v_and_or_b32 v1, 0xffe, v9, v1
	v_bfe_u32 v9, v16, 20, 11
	s_delay_alu instid0(VALU_DEP_2) | instskip(NEXT) | instid1(VALU_DEP_2)
	v_or_b32_e32 v23, 0x1000, v1
	v_sub_nc_u32_e32 v15, 0x3f1, v9
	v_add_nc_u32_e32 v9, 0xfffffc10, v9
	v_cmp_ne_u32_e64 s2, 0, v1
	s_delay_alu instid0(VALU_DEP_3) | instskip(NEXT) | instid1(VALU_DEP_1)
	v_med3_i32 v15, v15, 0, 13
	v_lshrrev_b32_e32 v24, v15, v23
	s_delay_alu instid0(VALU_DEP_1) | instskip(NEXT) | instid1(VALU_DEP_1)
	v_lshlrev_b32_e32 v15, v15, v24
	v_cmp_ne_u32_e64 s1, v15, v23
	v_lshl_or_b32 v23, v9, 12, v1
	s_delay_alu instid0(VALU_DEP_2) | instskip(SKIP_1) | instid1(VALU_DEP_2)
	v_cndmask_b32_e64 v15, 0, 1, s1
	v_cmp_gt_i32_e64 s1, 1, v9
	v_or_b32_e32 v15, v24, v15
	s_delay_alu instid0(VALU_DEP_1) | instskip(SKIP_2) | instid1(VALU_DEP_2)
	v_cndmask_b32_e64 v15, v23, v15, s1
	v_cndmask_b32_e64 v23, 0, 1, s0
	v_cmp_gt_i32_e64 s0, 1, v13
	v_or_b32_e32 v20, v20, v23
	v_lshl_or_b32 v23, v13, 12, v5
	v_cndmask_b32_e64 v5, 0, 1, s2
	s_delay_alu instid0(VALU_DEP_2) | instskip(SKIP_1) | instid1(VALU_DEP_3)
	v_cndmask_b32_e64 v20, v23, v20, s0
	v_and_b32_e32 v23, 7, v15
	v_lshl_or_b32 v5, v5, 9, 0x7c00
	s_delay_alu instid0(VALU_DEP_3) | instskip(NEXT) | instid1(VALU_DEP_3)
	v_and_b32_e32 v1, 7, v20
	v_cmp_lt_i32_e64 s0, 5, v23
	v_cmp_eq_u32_e64 s1, 3, v23
	s_delay_alu instid0(VALU_DEP_3) | instskip(SKIP_2) | instid1(VALU_DEP_4)
	v_cmp_lt_i32_e64 s3, 5, v1
	v_cmp_eq_u32_e64 s4, 3, v1
	v_lshrrev_b32_e32 v1, 2, v15
	s_or_b32 s0, s1, s0
	v_cndmask_b32_e64 v15, 0, 1, s5
	s_delay_alu instid0(VALU_DEP_2) | instskip(SKIP_1) | instid1(VALU_DEP_3)
	v_add_co_ci_u32_e64 v1, s0, 0, v1, s0
	v_cmp_gt_i32_e64 s0, 31, v9
	v_lshl_or_b32 v15, v15, 9, 0x7c00
	s_delay_alu instid0(VALU_DEP_2) | instskip(SKIP_2) | instid1(VALU_DEP_2)
	v_cndmask_b32_e64 v1, 0x7c00, v1, s0
	v_cmp_eq_u32_e64 s0, 0x40f, v9
	v_lshrrev_b32_e32 v9, 2, v20
	v_cndmask_b32_e64 v1, v1, v5, s0
	s_or_b32 s0, s4, s3
	v_lshrrev_b32_e32 v5, 16, v16
	s_delay_alu instid0(VALU_DEP_3) | instskip(SKIP_1) | instid1(VALU_DEP_3)
	v_add_co_ci_u32_e64 v9, s0, 0, v9, s0
	v_cmp_gt_i32_e64 s0, 31, v13
	v_and_or_b32 v1, 0x8000, v5, v1
	s_delay_alu instid0(VALU_DEP_2) | instskip(SKIP_2) | instid1(VALU_DEP_4)
	v_cndmask_b32_e64 v9, 0x7c00, v9, s0
	v_cmp_eq_u32_e64 s0, 0x40f, v13
	v_lshrrev_b32_e32 v13, 16, v14
	v_and_b32_e32 v1, 0xffff, v1
	s_delay_alu instid0(VALU_DEP_3) | instskip(NEXT) | instid1(VALU_DEP_1)
	v_cndmask_b32_e64 v9, v9, v15, s0
	v_and_or_b32 v5, 0x8000, v13, v9
	scratch_load_b32 v9, off, off offset:308 ; 4-byte Folded Reload
	v_lshl_or_b32 v1, v5, 16, v1
	global_store_b32 v[21:22], v1, off
	v_cvt_f32_f16_e32 v1, v28
	v_add_co_u32 v21, s0, v21, s13
	s_delay_alu instid0(VALU_DEP_1) | instskip(NEXT) | instid1(VALU_DEP_3)
	v_add_co_ci_u32_e64 v22, s0, s12, v22, s0
	v_cvt_f64_f32_e32 v[13:14], v1
	s_delay_alu instid0(VALU_DEP_1) | instskip(SKIP_4) | instid1(VALU_DEP_3)
	v_mul_f64 v[23:24], v[13:14], s[10:11]
	scratch_load_b32 v13, off, off offset:304 ; 4-byte Folded Reload
	v_and_or_b32 v1, 0x1ff, v24, v23
	v_lshrrev_b32_e32 v5, 8, v24
	v_bfe_u32 v27, v24, 20, 11
	v_cmp_ne_u32_e64 s0, 0, v1
	s_delay_alu instid0(VALU_DEP_1) | instskip(NEXT) | instid1(VALU_DEP_1)
	v_cndmask_b32_e64 v1, 0, 1, s0
	v_and_or_b32 v23, 0xffe, v5, v1
	s_delay_alu instid0(VALU_DEP_4) | instskip(NEXT) | instid1(VALU_DEP_2)
	v_sub_nc_u32_e32 v1, 0x3f1, v27
	v_or_b32_e32 v5, 0x1000, v23
	s_delay_alu instid0(VALU_DEP_2) | instskip(NEXT) | instid1(VALU_DEP_1)
	v_med3_i32 v1, v1, 0, 13
	v_lshrrev_b32_e32 v28, v1, v5
	s_delay_alu instid0(VALU_DEP_1) | instskip(NEXT) | instid1(VALU_DEP_1)
	v_lshlrev_b32_e32 v1, v1, v28
	v_cmp_ne_u32_e64 s1, v1, v5
	v_lshrrev_b32_e32 v5, 16, v6
	s_waitcnt vmcnt(1)
	s_delay_alu instid0(VALU_DEP_1) | instskip(SKIP_2) | instid1(VALU_DEP_2)
	v_mul_f16_e32 v1, v9, v5
	v_mul_f16_e32 v9, v9, v6
	s_waitcnt vmcnt(0)
	v_fmac_f16_e32 v1, v13, v6
	s_delay_alu instid0(VALU_DEP_2)
	v_fma_f16 v15, v13, v5, -v9
	ds_load_2addr_b32 v[5:6], v207 offset0:54 offset1:103
	v_cvt_f32_f16_e32 v1, v1
	s_waitcnt lgkmcnt(0)
	v_lshrrev_b32_e32 v16, 16, v5
	v_mul_f16_e32 v9, v32, v5
	s_delay_alu instid0(VALU_DEP_1) | instskip(NEXT) | instid1(VALU_DEP_1)
	v_fma_f16 v9, v31, v16, -v9
	v_cvt_f32_f16_e32 v9, v9
	s_delay_alu instid0(VALU_DEP_1) | instskip(NEXT) | instid1(VALU_DEP_1)
	v_cvt_f64_f32_e32 v[13:14], v9
	v_mul_f64 v[13:14], v[13:14], s[10:11]
	s_delay_alu instid0(VALU_DEP_1) | instskip(SKIP_1) | instid1(VALU_DEP_2)
	v_and_or_b32 v9, 0x1ff, v14, v13
	v_lshrrev_b32_e32 v13, 8, v14
	v_cmp_ne_u32_e64 s0, 0, v9
	s_delay_alu instid0(VALU_DEP_1) | instskip(NEXT) | instid1(VALU_DEP_1)
	v_cndmask_b32_e64 v9, 0, 1, s0
	v_and_or_b32 v9, 0xffe, v13, v9
	v_bfe_u32 v13, v14, 20, 11
	s_delay_alu instid0(VALU_DEP_2) | instskip(NEXT) | instid1(VALU_DEP_2)
	v_or_b32_e32 v26, 0x1000, v9
	v_sub_nc_u32_e32 v20, 0x3f1, v13
	v_add_nc_u32_e32 v13, 0xfffffc10, v13
	s_delay_alu instid0(VALU_DEP_2) | instskip(NEXT) | instid1(VALU_DEP_1)
	v_med3_i32 v25, v20, 0, 13
	v_lshrrev_b32_e32 v20, v25, v26
	s_delay_alu instid0(VALU_DEP_1) | instskip(NEXT) | instid1(VALU_DEP_1)
	v_lshlrev_b32_e32 v25, v25, v20
	v_cmp_ne_u32_e64 s0, v25, v26
	v_cvt_f64_f32_e32 v[25:26], v11
	s_delay_alu instid0(VALU_DEP_1) | instskip(NEXT) | instid1(VALU_DEP_1)
	v_mul_f64 v[25:26], v[25:26], s[10:11]
	v_and_or_b32 v11, 0x1ff, v26, v25
	v_lshrrev_b32_e32 v19, 8, v26
	s_delay_alu instid0(VALU_DEP_2) | instskip(NEXT) | instid1(VALU_DEP_1)
	v_cmp_ne_u32_e64 s2, 0, v11
	v_cndmask_b32_e64 v11, 0, 1, s2
	s_delay_alu instid0(VALU_DEP_1) | instskip(SKIP_1) | instid1(VALU_DEP_2)
	v_and_or_b32 v11, 0xffe, v19, v11
	v_bfe_u32 v19, v26, 20, 11
	v_or_b32_e32 v29, 0x1000, v11
	s_delay_alu instid0(VALU_DEP_2) | instskip(SKIP_2) | instid1(VALU_DEP_3)
	v_sub_nc_u32_e32 v25, 0x3f1, v19
	v_add_nc_u32_e32 v19, 0xfffffc10, v19
	v_cmp_ne_u32_e64 s4, 0, v11
	v_med3_i32 v25, v25, 0, 13
	s_delay_alu instid0(VALU_DEP_1) | instskip(NEXT) | instid1(VALU_DEP_1)
	v_lshrrev_b32_e32 v30, v25, v29
	v_lshlrev_b32_e32 v25, v25, v30
	s_delay_alu instid0(VALU_DEP_1) | instskip(SKIP_3) | instid1(VALU_DEP_4)
	v_cmp_ne_u32_e64 s2, v25, v29
	v_lshl_or_b32 v29, v19, 12, v11
	v_cndmask_b32_e64 v11, 0, 1, vcc_lo
	v_cmp_gt_i32_e32 vcc_lo, 1, v17
	v_cndmask_b32_e64 v25, 0, 1, s2
	v_cmp_gt_i32_e64 s2, 1, v19
	s_delay_alu instid0(VALU_DEP_4) | instskip(SKIP_1) | instid1(VALU_DEP_4)
	v_or_b32_e32 v11, v18, v11
	v_lshl_or_b32 v18, v17, 12, v7
	v_or_b32_e32 v25, v30, v25
	scratch_load_b32 v30, off, off offset:280 ; 4-byte Folded Reload
	v_cndmask_b32_e32 v11, v18, v11, vcc_lo
	v_cndmask_b32_e64 v25, v29, v25, s2
	s_delay_alu instid0(VALU_DEP_1) | instskip(SKIP_2) | instid1(VALU_DEP_3)
	v_and_b32_e32 v29, 7, v25
	v_lshrrev_b32_e32 v18, 2, v25
	v_cndmask_b32_e64 v25, 0, 1, s4
	v_cmp_lt_i32_e64 s2, 5, v29
	v_cmp_eq_u32_e64 s3, 3, v29
	s_delay_alu instid0(VALU_DEP_3) | instskip(NEXT) | instid1(VALU_DEP_2)
	v_lshl_or_b32 v25, v25, 9, 0x7c00
	s_or_b32 vcc_lo, s3, s2
	v_cmp_ne_u32_e64 s3, 0, v7
	v_add_co_ci_u32_e32 v18, vcc_lo, 0, v18, vcc_lo
	v_cmp_gt_i32_e32 vcc_lo, 31, v19
	v_lshrrev_b32_e32 v7, 2, v11
	s_delay_alu instid0(VALU_DEP_3) | instskip(SKIP_2) | instid1(VALU_DEP_3)
	v_cndmask_b32_e32 v18, 0x7c00, v18, vcc_lo
	v_cmp_eq_u32_e32 vcc_lo, 0x40f, v19
	v_lshrrev_b32_e32 v19, 16, v26
	v_dual_cndmask_b32 v18, v18, v25 :: v_dual_and_b32 v25, 7, v11
	v_cndmask_b32_e64 v11, 0, 1, s3
	s_delay_alu instid0(VALU_DEP_2) | instskip(SKIP_1) | instid1(VALU_DEP_3)
	v_cmp_lt_i32_e32 vcc_lo, 5, v25
	v_cmp_eq_u32_e64 s2, 3, v25
	v_lshl_or_b32 v11, v11, 9, 0x7c00
	scratch_load_b32 v25, off, off offset:272 ; 4-byte Folded Reload
	s_or_b32 vcc_lo, s2, vcc_lo
	v_add_co_ci_u32_e32 v7, vcc_lo, 0, v7, vcc_lo
	v_cmp_gt_i32_e32 vcc_lo, 31, v17
	s_delay_alu instid0(VALU_DEP_2) | instskip(SKIP_1) | instid1(VALU_DEP_2)
	v_cndmask_b32_e32 v7, 0x7c00, v7, vcc_lo
	v_cmp_eq_u32_e32 vcc_lo, 0x40f, v17
	v_cndmask_b32_e32 v7, v7, v11, vcc_lo
	v_and_or_b32 v11, 0x8000, v19, v18
	v_cvt_f64_f32_e32 v[17:18], v3
	s_delay_alu instid0(VALU_DEP_3) | instskip(NEXT) | instid1(VALU_DEP_3)
	v_and_or_b32 v7, 0x8000, v8, v7
	v_and_b32_e32 v8, 0xffff, v11
	s_delay_alu instid0(VALU_DEP_1) | instskip(SKIP_4) | instid1(VALU_DEP_1)
	v_lshl_or_b32 v7, v7, 16, v8
	global_store_b32 v[21:22], v7, off
	v_add_co_u32 v7, vcc_lo, v21, s13
	v_add_co_ci_u32_e32 v8, vcc_lo, s12, v22, vcc_lo
	v_mul_f64 v[17:18], v[17:18], s[10:11]
	v_and_or_b32 v3, 0x1ff, v18, v17
	v_lshrrev_b32_e32 v11, 8, v18
	s_delay_alu instid0(VALU_DEP_2) | instskip(SKIP_1) | instid1(VALU_DEP_1)
	v_cmp_ne_u32_e32 vcc_lo, 0, v3
	v_cndmask_b32_e64 v3, 0, 1, vcc_lo
	v_and_or_b32 v3, 0xffe, v11, v3
	v_bfe_u32 v11, v18, 20, 11
	s_delay_alu instid0(VALU_DEP_2) | instskip(NEXT) | instid1(VALU_DEP_2)
	v_or_b32_e32 v19, 0x1000, v3
	v_sub_nc_u32_e32 v17, 0x3f1, v11
	v_add_nc_u32_e32 v11, 0xfffffc10, v11
	v_cmp_ne_u32_e64 s2, 0, v3
	s_delay_alu instid0(VALU_DEP_3) | instskip(NEXT) | instid1(VALU_DEP_1)
	v_med3_i32 v17, v17, 0, 13
	v_lshrrev_b32_e32 v21, v17, v19
	s_delay_alu instid0(VALU_DEP_1) | instskip(NEXT) | instid1(VALU_DEP_1)
	v_lshlrev_b32_e32 v17, v17, v21
	v_cmp_ne_u32_e32 vcc_lo, v17, v19
	v_lshl_or_b32 v19, v11, 12, v3
	v_cndmask_b32_e64 v17, 0, 1, vcc_lo
	v_cmp_gt_i32_e32 vcc_lo, 1, v11
	s_delay_alu instid0(VALU_DEP_2) | instskip(SKIP_1) | instid1(VALU_DEP_2)
	v_or_b32_e32 v17, v21, v17
	v_add_nc_u32_e32 v21, 0xfffffc10, v27
	v_cndmask_b32_e32 v17, v19, v17, vcc_lo
	v_cndmask_b32_e64 v19, 0, 1, s1
	s_delay_alu instid0(VALU_DEP_3) | instskip(SKIP_1) | instid1(VALU_DEP_3)
	v_lshl_or_b32 v22, v21, 12, v23
	v_cmp_gt_i32_e32 vcc_lo, 1, v21
	v_or_b32_e32 v19, v28, v19
	s_delay_alu instid0(VALU_DEP_1) | instskip(NEXT) | instid1(VALU_DEP_1)
	v_dual_cndmask_b32 v19, v22, v19 :: v_dual_and_b32 v22, 7, v17
	v_and_b32_e32 v3, 7, v19
	s_delay_alu instid0(VALU_DEP_2) | instskip(SKIP_1) | instid1(VALU_DEP_3)
	v_cmp_lt_i32_e32 vcc_lo, 5, v22
	v_cmp_eq_u32_e64 s1, 3, v22
	v_cmp_lt_i32_e64 s3, 5, v3
	v_cmp_eq_u32_e64 s4, 3, v3
	v_lshrrev_b32_e32 v3, 2, v17
	s_delay_alu instid0(VALU_DEP_4) | instskip(SKIP_1) | instid1(VALU_DEP_3)
	s_or_b32 vcc_lo, s1, vcc_lo
	v_cndmask_b32_e64 v17, 0, 1, s2
	s_or_b32 s1, s4, s3
	s_delay_alu instid0(VALU_DEP_2) | instskip(SKIP_1) | instid1(VALU_DEP_3)
	v_add_co_ci_u32_e32 v3, vcc_lo, 0, v3, vcc_lo
	v_cmp_gt_i32_e32 vcc_lo, 31, v11
	v_lshl_or_b32 v17, v17, 9, 0x7c00
	s_delay_alu instid0(VALU_DEP_3) | instskip(SKIP_2) | instid1(VALU_DEP_3)
	v_cndmask_b32_e32 v3, 0x7c00, v3, vcc_lo
	v_cmp_eq_u32_e32 vcc_lo, 0x40f, v11
	v_lshrrev_b32_e32 v11, 16, v18
	v_cndmask_b32_e32 v3, v3, v17, vcc_lo
	v_lshrrev_b32_e32 v17, 2, v19
	v_cmp_ne_u32_e32 vcc_lo, 0, v23
	s_delay_alu instid0(VALU_DEP_3) | instskip(NEXT) | instid1(VALU_DEP_3)
	v_and_or_b32 v3, 0x8000, v11, v3
	v_add_co_ci_u32_e64 v17, s1, 0, v17, s1
	v_cmp_gt_i32_e64 s1, 31, v21
	v_cndmask_b32_e64 v18, 0, 1, vcc_lo
	v_cmp_eq_u32_e32 vcc_lo, 0x40f, v21
	v_and_b32_e32 v3, 0xffff, v3
	s_delay_alu instid0(VALU_DEP_4) | instskip(NEXT) | instid1(VALU_DEP_4)
	v_cndmask_b32_e64 v17, 0x7c00, v17, s1
	v_lshl_or_b32 v18, v18, 9, 0x7c00
	s_delay_alu instid0(VALU_DEP_1) | instskip(SKIP_1) | instid1(VALU_DEP_1)
	v_cndmask_b32_e32 v17, v17, v18, vcc_lo
	v_lshrrev_b32_e32 v18, 16, v24
	v_and_or_b32 v11, 0x8000, v18, v17
	s_delay_alu instid0(VALU_DEP_1) | instskip(SKIP_4) | instid1(VALU_DEP_3)
	v_lshl_or_b32 v3, v11, 16, v3
	global_store_b32 v[7:8], v3, off
	v_cvt_f32_f16_e32 v3, v15
	v_add_co_u32 v7, vcc_lo, v7, s13
	v_add_co_ci_u32_e32 v8, vcc_lo, s12, v8, vcc_lo
	v_cvt_f64_f32_e32 v[17:18], v3
	s_delay_alu instid0(VALU_DEP_1) | instskip(NEXT) | instid1(VALU_DEP_1)
	v_mul_f64 v[18:19], v[17:18], s[10:11]
	v_and_or_b32 v3, 0x1ff, v19, v18
	v_lshrrev_b32_e32 v11, 8, v19
	v_bfe_u32 v22, v19, 20, 11
	scratch_load_b32 v18, off, off offset:288 ; 4-byte Folded Reload
	v_cmp_ne_u32_e32 vcc_lo, 0, v3
	v_cndmask_b32_e64 v3, 0, 1, vcc_lo
	s_delay_alu instid0(VALU_DEP_1) | instskip(SKIP_1) | instid1(VALU_DEP_2)
	v_and_or_b32 v17, 0xffe, v11, v3
	v_sub_nc_u32_e32 v3, 0x3f1, v22
	v_or_b32_e32 v11, 0x1000, v17
	s_delay_alu instid0(VALU_DEP_2) | instskip(NEXT) | instid1(VALU_DEP_1)
	v_med3_i32 v3, v3, 0, 13
	v_lshrrev_b32_e32 v23, v3, v11
	s_delay_alu instid0(VALU_DEP_1) | instskip(NEXT) | instid1(VALU_DEP_1)
	v_lshlrev_b32_e32 v3, v3, v23
	v_cmp_ne_u32_e32 vcc_lo, v3, v11
	scratch_load_b32 v11, off, off offset:292 ; 4-byte Folded Reload
	v_lshrrev_b32_e32 v3, 16, v10
	s_waitcnt vmcnt(0)
	s_delay_alu instid0(VALU_DEP_1) | instskip(SKIP_1) | instid1(VALU_DEP_2)
	v_mul_f16_e32 v15, v11, v3
	v_mul_f16_e32 v11, v11, v10
	v_fmac_f16_e32 v15, v18, v10
	v_mul_f16_e32 v10, v32, v16
	s_delay_alu instid0(VALU_DEP_3)
	v_fma_f16 v3, v18, v3, -v11
	scratch_load_b32 v32, off, off offset:252 ; 4-byte Folded Reload
	v_fmac_f16_e32 v10, v31, v5
	scratch_load_b32 v31, off, off offset:284 ; 4-byte Folded Reload
	v_cvt_f32_f16_e32 v3, v3
	v_cvt_f32_f16_e32 v5, v10
	s_delay_alu instid0(VALU_DEP_1) | instskip(NEXT) | instid1(VALU_DEP_1)
	v_cvt_f64_f32_e32 v[10:11], v5
	v_mul_f64 v[10:11], v[10:11], s[10:11]
	s_delay_alu instid0(VALU_DEP_1) | instskip(SKIP_1) | instid1(VALU_DEP_2)
	v_and_or_b32 v5, 0x1ff, v11, v10
	v_lshrrev_b32_e32 v10, 8, v11
	v_cmp_ne_u32_e64 s1, 0, v5
	s_delay_alu instid0(VALU_DEP_1) | instskip(NEXT) | instid1(VALU_DEP_1)
	v_cndmask_b32_e64 v5, 0, 1, s1
	v_and_or_b32 v5, 0xffe, v10, v5
	v_bfe_u32 v10, v11, 20, 11
	s_delay_alu instid0(VALU_DEP_2) | instskip(NEXT) | instid1(VALU_DEP_2)
	v_or_b32_e32 v18, 0x1000, v5
	v_sub_nc_u32_e32 v16, 0x3f1, v10
	v_add_nc_u32_e32 v10, 0xfffffc10, v10
	v_cmp_ne_u32_e64 s2, 0, v5
	s_delay_alu instid0(VALU_DEP_3) | instskip(NEXT) | instid1(VALU_DEP_1)
	v_med3_i32 v16, v16, 0, 13
	v_lshrrev_b32_e32 v21, v16, v18
	s_delay_alu instid0(VALU_DEP_1) | instskip(NEXT) | instid1(VALU_DEP_1)
	v_lshlrev_b32_e32 v16, v16, v21
	v_cmp_ne_u32_e64 s1, v16, v18
	v_lshl_or_b32 v18, v10, 12, v5
	s_delay_alu instid0(VALU_DEP_2) | instskip(SKIP_1) | instid1(VALU_DEP_2)
	v_cndmask_b32_e64 v16, 0, 1, s1
	v_cmp_gt_i32_e64 s1, 1, v10
	v_or_b32_e32 v16, v21, v16
	s_delay_alu instid0(VALU_DEP_1) | instskip(SKIP_2) | instid1(VALU_DEP_2)
	v_cndmask_b32_e64 v16, v18, v16, s1
	v_cndmask_b32_e64 v18, 0, 1, s0
	v_cmp_gt_i32_e64 s0, 1, v13
	v_or_b32_e32 v18, v20, v18
	v_lshl_or_b32 v20, v13, 12, v9
	s_delay_alu instid0(VALU_DEP_1) | instskip(SKIP_1) | instid1(VALU_DEP_2)
	v_cndmask_b32_e64 v18, v20, v18, s0
	v_and_b32_e32 v20, 7, v16
	v_and_b32_e32 v5, 7, v18
	s_delay_alu instid0(VALU_DEP_2) | instskip(SKIP_1) | instid1(VALU_DEP_3)
	v_cmp_lt_i32_e64 s0, 5, v20
	v_cmp_eq_u32_e64 s1, 3, v20
	v_cmp_lt_i32_e64 s3, 5, v5
	v_cmp_eq_u32_e64 s4, 3, v5
	v_lshrrev_b32_e32 v5, 2, v16
	s_delay_alu instid0(VALU_DEP_4) | instskip(SKIP_1) | instid1(VALU_DEP_3)
	s_or_b32 s0, s1, s0
	v_cndmask_b32_e64 v16, 0, 1, s2
	s_or_b32 s1, s4, s3
	s_delay_alu instid0(VALU_DEP_2) | instskip(SKIP_1) | instid1(VALU_DEP_3)
	v_add_co_ci_u32_e64 v5, s0, 0, v5, s0
	v_cmp_gt_i32_e64 s0, 31, v10
	v_lshl_or_b32 v16, v16, 9, 0x7c00
	s_delay_alu instid0(VALU_DEP_2) | instskip(SKIP_2) | instid1(VALU_DEP_2)
	v_cndmask_b32_e64 v5, 0x7c00, v5, s0
	v_cmp_eq_u32_e64 s0, 0x40f, v10
	v_lshrrev_b32_e32 v10, 2, v18
	v_cndmask_b32_e64 v5, v5, v16, s0
	scratch_load_b32 v16, off, off offset:276 ; 4-byte Folded Reload
	v_cmp_ne_u32_e64 s0, 0, v9
	v_add_co_ci_u32_e64 v10, s1, 0, v10, s1
	v_lshrrev_b32_e32 v9, 16, v11
	v_cmp_gt_i32_e64 s1, 31, v13
	s_delay_alu instid0(VALU_DEP_4) | instskip(SKIP_1) | instid1(VALU_DEP_4)
	v_cndmask_b32_e64 v11, 0, 1, s0
	v_cmp_eq_u32_e64 s0, 0x40f, v13
	v_and_or_b32 v5, 0x8000, v9, v5
	s_delay_alu instid0(VALU_DEP_4) | instskip(NEXT) | instid1(VALU_DEP_4)
	v_cndmask_b32_e64 v10, 0x7c00, v10, s1
	v_lshl_or_b32 v11, v11, 9, 0x7c00
	s_delay_alu instid0(VALU_DEP_3) | instskip(NEXT) | instid1(VALU_DEP_2)
	v_and_b32_e32 v5, 0xffff, v5
	v_cndmask_b32_e64 v10, v10, v11, s0
	v_lshrrev_b32_e32 v11, 16, v14
	s_delay_alu instid0(VALU_DEP_1) | instskip(NEXT) | instid1(VALU_DEP_1)
	v_and_or_b32 v9, 0x8000, v11, v10
	v_lshl_or_b32 v5, v9, 16, v5
	v_add_co_u32 v9, s0, v7, s13
	s_delay_alu instid0(VALU_DEP_1)
	v_add_co_ci_u32_e64 v10, s0, s12, v8, s0
	global_store_b32 v[7:8], v5, off
	ds_load_2addr_b32 v[7:8], v250 offset0:100 offset1:149
	s_waitcnt lgkmcnt(0)
	v_lshrrev_b32_e32 v24, 16, v7
	s_waitcnt vmcnt(1)
	v_mul_f16_e32 v5, v31, v7
	s_delay_alu instid0(VALU_DEP_1) | instskip(NEXT) | instid1(VALU_DEP_1)
	v_fma_f16 v5, v30, v24, -v5
	v_cvt_f32_f16_e32 v5, v5
	s_delay_alu instid0(VALU_DEP_1) | instskip(NEXT) | instid1(VALU_DEP_1)
	v_cvt_f64_f32_e32 v[13:14], v5
	v_mul_f64 v[20:21], v[13:14], s[10:11]
	v_cvt_f64_f32_e32 v[13:14], v3
	s_delay_alu instid0(VALU_DEP_2) | instskip(NEXT) | instid1(VALU_DEP_2)
	v_and_or_b32 v5, 0x1ff, v21, v20
	v_mul_f64 v[13:14], v[13:14], s[10:11]
	v_lshrrev_b32_e32 v11, 8, v21
	v_bfe_u32 v26, v21, 20, 11
	s_delay_alu instid0(VALU_DEP_4) | instskip(NEXT) | instid1(VALU_DEP_1)
	v_cmp_ne_u32_e64 s0, 0, v5
	v_cndmask_b32_e64 v5, 0, 1, s0
	s_delay_alu instid0(VALU_DEP_1) | instskip(NEXT) | instid1(VALU_DEP_4)
	v_and_or_b32 v20, 0xffe, v11, v5
	v_sub_nc_u32_e32 v5, 0x3f1, v26
	s_delay_alu instid0(VALU_DEP_2) | instskip(NEXT) | instid1(VALU_DEP_2)
	v_or_b32_e32 v11, 0x1000, v20
	v_med3_i32 v5, v5, 0, 13
	s_delay_alu instid0(VALU_DEP_1) | instskip(NEXT) | instid1(VALU_DEP_1)
	v_lshrrev_b32_e32 v27, v5, v11
	v_lshlrev_b32_e32 v5, v5, v27
	s_delay_alu instid0(VALU_DEP_1) | instskip(SKIP_3) | instid1(VALU_DEP_3)
	v_cmp_ne_u32_e64 s1, v5, v11
	v_and_or_b32 v3, 0x1ff, v14, v13
	v_lshrrev_b32_e32 v5, 8, v14
	v_bfe_u32 v13, v14, 20, 11
	v_cmp_ne_u32_e64 s0, 0, v3
	s_delay_alu instid0(VALU_DEP_1) | instskip(NEXT) | instid1(VALU_DEP_1)
	v_cndmask_b32_e64 v3, 0, 1, s0
	v_and_or_b32 v5, 0xffe, v5, v3
	s_delay_alu instid0(VALU_DEP_4) | instskip(NEXT) | instid1(VALU_DEP_2)
	v_sub_nc_u32_e32 v3, 0x3f1, v13
	v_or_b32_e32 v11, 0x1000, v5
	s_delay_alu instid0(VALU_DEP_2) | instskip(NEXT) | instid1(VALU_DEP_1)
	v_med3_i32 v3, v3, 0, 13
	v_lshrrev_b32_e32 v18, v3, v11
	s_delay_alu instid0(VALU_DEP_1) | instskip(NEXT) | instid1(VALU_DEP_1)
	v_lshlrev_b32_e32 v3, v3, v18
	v_cmp_ne_u32_e64 s0, v3, v11
	v_lshrrev_b32_e32 v11, 16, v12
	s_waitcnt vmcnt(0)
	s_delay_alu instid0(VALU_DEP_1) | instskip(SKIP_1) | instid1(VALU_DEP_2)
	v_mul_f16_e32 v3, v16, v11
	v_mul_f16_e32 v16, v16, v12
	v_fmac_f16_e32 v3, v25, v12
	s_delay_alu instid0(VALU_DEP_2) | instskip(SKIP_1) | instid1(VALU_DEP_3)
	v_fma_f16 v28, v25, v11, -v16
	v_cvt_f64_f32_e32 v[11:12], v1
	v_cvt_f32_f16_e32 v3, v3
	s_delay_alu instid0(VALU_DEP_2) | instskip(NEXT) | instid1(VALU_DEP_1)
	v_mul_f64 v[11:12], v[11:12], s[10:11]
	v_and_or_b32 v1, 0x1ff, v12, v11
	v_lshrrev_b32_e32 v11, 8, v12
	s_delay_alu instid0(VALU_DEP_2) | instskip(NEXT) | instid1(VALU_DEP_1)
	v_cmp_ne_u32_e64 s2, 0, v1
	v_cndmask_b32_e64 v1, 0, 1, s2
	s_delay_alu instid0(VALU_DEP_1) | instskip(SKIP_2) | instid1(VALU_DEP_3)
	v_and_or_b32 v1, 0xffe, v11, v1
	v_bfe_u32 v11, v12, 20, 11
	v_lshrrev_b32_e32 v12, 16, v12
	v_or_b32_e32 v25, 0x1000, v1
	s_delay_alu instid0(VALU_DEP_3) | instskip(SKIP_1) | instid1(VALU_DEP_2)
	v_sub_nc_u32_e32 v16, 0x3f1, v11
	v_add_nc_u32_e32 v11, 0xfffffc10, v11
	v_med3_i32 v16, v16, 0, 13
	s_delay_alu instid0(VALU_DEP_1) | instskip(NEXT) | instid1(VALU_DEP_1)
	v_lshrrev_b32_e32 v29, v16, v25
	v_lshlrev_b32_e32 v16, v16, v29
	s_delay_alu instid0(VALU_DEP_1) | instskip(SKIP_1) | instid1(VALU_DEP_2)
	v_cmp_ne_u32_e64 s2, v16, v25
	v_lshl_or_b32 v25, v11, 12, v1
	v_cndmask_b32_e64 v16, 0, 1, s2
	v_cmp_gt_i32_e64 s2, 1, v11
	s_delay_alu instid0(VALU_DEP_2) | instskip(NEXT) | instid1(VALU_DEP_1)
	v_or_b32_e32 v16, v29, v16
	v_cndmask_b32_e64 v16, v25, v16, s2
	s_delay_alu instid0(VALU_DEP_1) | instskip(SKIP_1) | instid1(VALU_DEP_2)
	v_and_b32_e32 v25, 7, v16
	v_lshrrev_b32_e32 v16, 2, v16
	v_cmp_lt_i32_e64 s2, 5, v25
	v_cmp_eq_u32_e64 s3, 3, v25
	v_cndmask_b32_e64 v25, 0, 1, vcc_lo
	v_cmp_ne_u32_e32 vcc_lo, 0, v1
	v_add_nc_u32_e32 v1, 0xfffffc10, v22
	s_delay_alu instid0(VALU_DEP_4) | instskip(NEXT) | instid1(VALU_DEP_3)
	s_or_b32 s2, s3, s2
	v_or_b32_e32 v23, v23, v25
	v_add_co_ci_u32_e64 v16, s2, 0, v16, s2
	s_delay_alu instid0(VALU_DEP_3) | instskip(SKIP_3) | instid1(VALU_DEP_3)
	v_lshl_or_b32 v22, v1, 12, v17
	v_cmp_gt_i32_e64 s4, 1, v1
	v_cmp_gt_i32_e64 s2, 31, v11
	v_cmp_ne_u32_e64 s3, 0, v17
	v_cndmask_b32_e64 v22, v22, v23, s4
	v_cndmask_b32_e64 v23, 0, 1, vcc_lo
	s_delay_alu instid0(VALU_DEP_4) | instskip(SKIP_2) | instid1(VALU_DEP_4)
	v_cndmask_b32_e64 v16, 0x7c00, v16, s2
	v_cmp_eq_u32_e32 vcc_lo, 0x40f, v11
	v_cndmask_b32_e64 v17, 0, 1, s3
	v_lshl_or_b32 v23, v23, 9, 0x7c00
	s_delay_alu instid0(VALU_DEP_2) | instskip(NEXT) | instid1(VALU_DEP_2)
	v_lshl_or_b32 v17, v17, 9, 0x7c00
	v_dual_cndmask_b32 v11, v16, v23 :: v_dual_and_b32 v16, 7, v22
	s_delay_alu instid0(VALU_DEP_1) | instskip(NEXT) | instid1(VALU_DEP_2)
	v_and_or_b32 v11, 0x8000, v12, v11
	v_cmp_lt_i32_e32 vcc_lo, 5, v16
	v_cmp_eq_u32_e64 s2, 3, v16
	v_lshrrev_b32_e32 v16, 2, v22
	s_delay_alu instid0(VALU_DEP_4) | instskip(NEXT) | instid1(VALU_DEP_3)
	v_and_b32_e32 v11, 0xffff, v11
	s_or_b32 vcc_lo, s2, vcc_lo
	s_delay_alu instid0(VALU_DEP_2) | instskip(SKIP_1) | instid1(VALU_DEP_2)
	v_add_co_ci_u32_e32 v16, vcc_lo, 0, v16, vcc_lo
	v_cmp_gt_i32_e32 vcc_lo, 31, v1
	v_cndmask_b32_e32 v16, 0x7c00, v16, vcc_lo
	v_cmp_eq_u32_e32 vcc_lo, 0x40f, v1
	s_delay_alu instid0(VALU_DEP_2) | instskip(SKIP_3) | instid1(VALU_DEP_3)
	v_cndmask_b32_e32 v1, v16, v17, vcc_lo
	v_lshrrev_b32_e32 v16, 16, v19
	v_add_co_u32 v22, vcc_lo, v9, s13
	v_add_co_ci_u32_e32 v23, vcc_lo, s12, v10, vcc_lo
	v_and_or_b32 v1, 0x8000, v16, v1
	s_delay_alu instid0(VALU_DEP_1)
	v_lshl_or_b32 v1, v1, 16, v11
	global_store_b32 v[9:10], v1, off
	ds_load_2addr_b32 v[9:10], v251 offset0:98 offset1:147
	s_waitcnt lgkmcnt(0)
	v_lshrrev_b32_e32 v19, 16, v9
	v_mul_f16_e32 v1, v34, v9
	s_delay_alu instid0(VALU_DEP_1)
	v_fma_f16 v1, v33, v19, -v1
	v_mul_f16_e32 v19, v34, v19
	scratch_load_b32 v34, off, off offset:220 ; 4-byte Folded Reload
	v_cvt_f32_f16_e32 v1, v1
	v_fmac_f16_e32 v19, v33, v9
	scratch_load_b32 v33, off, off offset:216 ; 4-byte Folded Reload
	v_cvt_f64_f32_e32 v[11:12], v1
	v_cvt_f32_f16_e32 v9, v19
	s_delay_alu instid0(VALU_DEP_2) | instskip(NEXT) | instid1(VALU_DEP_1)
	v_mul_f64 v[11:12], v[11:12], s[10:11]
	v_and_or_b32 v1, 0x1ff, v12, v11
	v_lshrrev_b32_e32 v11, 8, v12
	v_bfe_u32 v16, v12, 20, 11
	s_delay_alu instid0(VALU_DEP_3) | instskip(SKIP_1) | instid1(VALU_DEP_1)
	v_cmp_ne_u32_e32 vcc_lo, 0, v1
	v_cndmask_b32_e64 v1, 0, 1, vcc_lo
	v_and_or_b32 v11, 0xffe, v11, v1
	s_delay_alu instid0(VALU_DEP_4) | instskip(SKIP_1) | instid1(VALU_DEP_3)
	v_sub_nc_u32_e32 v1, 0x3f1, v16
	v_add_nc_u32_e32 v16, 0xfffffc10, v16
	v_or_b32_e32 v25, 0x1000, v11
	s_delay_alu instid0(VALU_DEP_3) | instskip(NEXT) | instid1(VALU_DEP_1)
	v_med3_i32 v1, v1, 0, 13
	v_lshrrev_b32_e32 v17, v1, v25
	s_delay_alu instid0(VALU_DEP_1) | instskip(NEXT) | instid1(VALU_DEP_1)
	v_lshlrev_b32_e32 v1, v1, v17
	v_cmp_ne_u32_e32 vcc_lo, v1, v25
	v_mul_f16_e32 v1, v31, v24
	scratch_load_b32 v31, off, off offset:248 ; 4-byte Folded Reload
	v_fmac_f16_e32 v1, v30, v7
	s_delay_alu instid0(VALU_DEP_1) | instskip(NEXT) | instid1(VALU_DEP_1)
	v_cvt_f32_f16_e32 v1, v1
	v_cvt_f64_f32_e32 v[24:25], v1
	s_delay_alu instid0(VALU_DEP_1) | instskip(NEXT) | instid1(VALU_DEP_1)
	v_mul_f64 v[24:25], v[24:25], s[10:11]
	v_and_or_b32 v1, 0x1ff, v25, v24
	v_lshrrev_b32_e32 v7, 8, v25
	s_delay_alu instid0(VALU_DEP_2) | instskip(NEXT) | instid1(VALU_DEP_1)
	v_cmp_ne_u32_e64 s2, 0, v1
	v_cndmask_b32_e64 v1, 0, 1, s2
	s_delay_alu instid0(VALU_DEP_1) | instskip(SKIP_1) | instid1(VALU_DEP_2)
	v_and_or_b32 v1, 0xffe, v7, v1
	v_bfe_u32 v7, v25, 20, 11
	v_or_b32_e32 v29, 0x1000, v1
	s_delay_alu instid0(VALU_DEP_2) | instskip(SKIP_1) | instid1(VALU_DEP_2)
	v_sub_nc_u32_e32 v24, 0x3f1, v7
	v_add_nc_u32_e32 v7, 0xfffffc10, v7
	v_med3_i32 v24, v24, 0, 13
	s_delay_alu instid0(VALU_DEP_1) | instskip(NEXT) | instid1(VALU_DEP_1)
	v_lshrrev_b32_e32 v30, v24, v29
	v_lshlrev_b32_e32 v24, v24, v30
	s_delay_alu instid0(VALU_DEP_1) | instskip(SKIP_1) | instid1(VALU_DEP_2)
	v_cmp_ne_u32_e64 s2, v24, v29
	v_lshl_or_b32 v29, v7, 12, v1
	v_cndmask_b32_e64 v24, 0, 1, s2
	v_cmp_gt_i32_e64 s2, 1, v7
	s_delay_alu instid0(VALU_DEP_2) | instskip(NEXT) | instid1(VALU_DEP_1)
	v_or_b32_e32 v24, v30, v24
	v_cndmask_b32_e64 v24, v29, v24, s2
	s_delay_alu instid0(VALU_DEP_1) | instskip(SKIP_1) | instid1(VALU_DEP_2)
	v_and_b32_e32 v29, 7, v24
	v_lshrrev_b32_e32 v24, 2, v24
	v_cmp_lt_i32_e64 s2, 5, v29
	v_cmp_eq_u32_e64 s3, 3, v29
	v_cndmask_b32_e64 v29, 0, 1, s1
	v_cmp_ne_u32_e64 s1, 0, v1
	v_add_nc_u32_e32 v1, 0xfffffc10, v26
	s_delay_alu instid0(VALU_DEP_4) | instskip(NEXT) | instid1(VALU_DEP_3)
	s_or_b32 s2, s3, s2
	v_or_b32_e32 v27, v27, v29
	v_add_co_ci_u32_e64 v24, s2, 0, v24, s2
	s_delay_alu instid0(VALU_DEP_3) | instskip(SKIP_3) | instid1(VALU_DEP_3)
	v_lshl_or_b32 v26, v1, 12, v20
	v_cmp_gt_i32_e64 s4, 1, v1
	v_cmp_gt_i32_e64 s2, 31, v7
	v_cmp_ne_u32_e64 s3, 0, v20
	v_cndmask_b32_e64 v26, v26, v27, s4
	v_cndmask_b32_e64 v27, 0, 1, s1
	s_delay_alu instid0(VALU_DEP_4) | instskip(SKIP_1) | instid1(VALU_DEP_4)
	v_cndmask_b32_e64 v24, 0x7c00, v24, s2
	v_cmp_eq_u32_e64 s1, 0x40f, v7
	v_lshrrev_b32_e32 v20, 2, v26
	s_delay_alu instid0(VALU_DEP_4) | instskip(NEXT) | instid1(VALU_DEP_1)
	v_lshl_or_b32 v27, v27, 9, 0x7c00
	v_cndmask_b32_e64 v7, v24, v27, s1
	v_lshrrev_b32_e32 v24, 16, v25
	v_and_b32_e32 v25, 7, v26
	s_delay_alu instid0(VALU_DEP_2) | instskip(NEXT) | instid1(VALU_DEP_2)
	v_and_or_b32 v7, 0x8000, v24, v7
	v_cmp_lt_i32_e64 s1, 5, v25
	v_cmp_eq_u32_e64 s2, 3, v25
	v_cndmask_b32_e64 v25, 0, 1, s3
	s_delay_alu instid0(VALU_DEP_4) | instskip(NEXT) | instid1(VALU_DEP_3)
	v_and_b32_e32 v7, 0xffff, v7
	s_or_b32 s1, s2, s1
	s_delay_alu instid0(VALU_DEP_2) | instskip(SKIP_2) | instid1(VALU_DEP_1)
	v_lshl_or_b32 v25, v25, 9, 0x7c00
	v_add_co_ci_u32_e64 v20, s1, 0, v20, s1
	v_cmp_gt_i32_e64 s1, 31, v1
	v_cndmask_b32_e64 v20, 0x7c00, v20, s1
	v_cmp_eq_u32_e64 s1, 0x40f, v1
	s_delay_alu instid0(VALU_DEP_1) | instskip(SKIP_1) | instid1(VALU_DEP_1)
	v_cndmask_b32_e64 v1, v20, v25, s1
	v_lshrrev_b32_e32 v20, 16, v21
	v_and_or_b32 v1, 0x8000, v20, v1
	v_add_co_u32 v20, s1, v22, s13
	s_delay_alu instid0(VALU_DEP_1) | instskip(NEXT) | instid1(VALU_DEP_3)
	v_add_co_ci_u32_e64 v21, s1, s12, v23, s1
	v_lshl_or_b32 v1, v1, 16, v7
	global_store_b32 v[22:23], v1, off
	v_cvt_f32_f16_e32 v1, v15
	s_delay_alu instid0(VALU_DEP_1) | instskip(NEXT) | instid1(VALU_DEP_1)
	v_cvt_f64_f32_e32 v[22:23], v1
	v_mul_f64 v[22:23], v[22:23], s[10:11]
	s_delay_alu instid0(VALU_DEP_1) | instskip(SKIP_1) | instid1(VALU_DEP_2)
	v_and_or_b32 v1, 0x1ff, v23, v22
	v_lshrrev_b32_e32 v7, 8, v23
	v_cmp_ne_u32_e64 s1, 0, v1
	s_delay_alu instid0(VALU_DEP_1) | instskip(NEXT) | instid1(VALU_DEP_1)
	v_cndmask_b32_e64 v1, 0, 1, s1
	v_and_or_b32 v1, 0xffe, v7, v1
	v_bfe_u32 v7, v23, 20, 11
	s_delay_alu instid0(VALU_DEP_2) | instskip(NEXT) | instid1(VALU_DEP_2)
	v_or_b32_e32 v22, 0x1000, v1
	v_sub_nc_u32_e32 v15, 0x3f1, v7
	v_add_nc_u32_e32 v7, 0xfffffc10, v7
	s_delay_alu instid0(VALU_DEP_2) | instskip(NEXT) | instid1(VALU_DEP_1)
	v_med3_i32 v15, v15, 0, 13
	v_lshrrev_b32_e32 v24, v15, v22
	s_delay_alu instid0(VALU_DEP_1) | instskip(NEXT) | instid1(VALU_DEP_1)
	v_lshlrev_b32_e32 v15, v15, v24
	v_cmp_ne_u32_e64 s1, v15, v22
	v_lshl_or_b32 v22, v7, 12, v1
	s_delay_alu instid0(VALU_DEP_2) | instskip(SKIP_1) | instid1(VALU_DEP_2)
	v_cndmask_b32_e64 v15, 0, 1, s1
	v_cmp_gt_i32_e64 s1, 1, v7
	v_or_b32_e32 v15, v24, v15
	s_delay_alu instid0(VALU_DEP_1) | instskip(NEXT) | instid1(VALU_DEP_1)
	v_cndmask_b32_e64 v15, v22, v15, s1
	v_and_b32_e32 v22, 7, v15
	v_lshrrev_b32_e32 v15, 2, v15
	s_delay_alu instid0(VALU_DEP_2) | instskip(SKIP_4) | instid1(VALU_DEP_4)
	v_cmp_lt_i32_e64 s1, 5, v22
	v_cmp_eq_u32_e64 s2, 3, v22
	v_cndmask_b32_e64 v22, 0, 1, s0
	v_cmp_ne_u32_e64 s0, 0, v1
	v_add_nc_u32_e32 v1, 0xfffffc10, v13
	s_or_b32 s1, s2, s1
	s_delay_alu instid0(VALU_DEP_3) | instskip(SKIP_1) | instid1(VALU_DEP_3)
	v_or_b32_e32 v18, v18, v22
	v_add_co_ci_u32_e64 v15, s1, 0, v15, s1
	v_lshl_or_b32 v13, v1, 12, v5
	v_cmp_gt_i32_e64 s3, 1, v1
	v_cmp_gt_i32_e64 s1, 31, v7
	v_cmp_ne_u32_e64 s2, 0, v5
	v_lshrrev_b32_e32 v5, 16, v23
	s_delay_alu instid0(VALU_DEP_4) | instskip(SKIP_3) | instid1(VALU_DEP_3)
	v_cndmask_b32_e64 v13, v13, v18, s3
	v_cndmask_b32_e64 v18, 0, 1, s0
	;; [unrolled: 1-line block ×3, first 2 shown]
	v_cmp_eq_u32_e64 s0, 0x40f, v7
	v_lshl_or_b32 v18, v18, 9, 0x7c00
	s_delay_alu instid0(VALU_DEP_1) | instskip(SKIP_2) | instid1(VALU_DEP_3)
	v_cndmask_b32_e64 v7, v15, v18, s0
	v_and_b32_e32 v15, 7, v13
	v_lshrrev_b32_e32 v13, 2, v13
	v_and_or_b32 v5, 0x8000, v5, v7
	s_delay_alu instid0(VALU_DEP_3)
	v_cmp_lt_i32_e64 s0, 5, v15
	v_cmp_eq_u32_e64 s1, 3, v15
	v_cndmask_b32_e64 v15, 0, 1, s2
	scratch_load_b32 v7, off, off offset:260 ; 4-byte Folded Reload
	v_and_b32_e32 v5, 0xffff, v5
	s_or_b32 s0, s1, s0
	v_lshl_or_b32 v15, v15, 9, 0x7c00
	v_add_co_ci_u32_e64 v13, s0, 0, v13, s0
	v_cmp_gt_i32_e64 s0, 31, v1
	s_delay_alu instid0(VALU_DEP_1) | instskip(SKIP_1) | instid1(VALU_DEP_1)
	v_cndmask_b32_e64 v13, 0x7c00, v13, s0
	v_cmp_eq_u32_e64 s0, 0x40f, v1
	v_cndmask_b32_e64 v1, v13, v15, s0
	v_lshrrev_b32_e32 v13, 16, v14
	v_add_co_u32 v22, s0, v20, s8
	s_delay_alu instid0(VALU_DEP_1) | instskip(NEXT) | instid1(VALU_DEP_3)
	v_add_co_ci_u32_e64 v23, s0, s9, v21, s0
	v_and_or_b32 v1, 0x8000, v13, v1
	s_delay_alu instid0(VALU_DEP_1) | instskip(SKIP_2) | instid1(VALU_DEP_1)
	v_lshl_or_b32 v1, v1, 16, v5
	global_store_b32 v[20:21], v1, off
	v_cvt_f32_f16_e32 v1, v28
	v_cvt_f64_f32_e32 v[13:14], v1
	s_delay_alu instid0(VALU_DEP_1) | instskip(SKIP_4) | instid1(VALU_DEP_3)
	v_mul_f64 v[20:21], v[13:14], s[10:11]
	scratch_load_b32 v13, off, off offset:256 ; 4-byte Folded Reload
	v_and_or_b32 v1, 0x1ff, v21, v20
	v_lshrrev_b32_e32 v5, 8, v21
	v_bfe_u32 v27, v21, 20, 11
	v_cmp_ne_u32_e64 s0, 0, v1
	s_delay_alu instid0(VALU_DEP_1) | instskip(NEXT) | instid1(VALU_DEP_1)
	v_cndmask_b32_e64 v1, 0, 1, s0
	v_and_or_b32 v26, 0xffe, v5, v1
	s_delay_alu instid0(VALU_DEP_4) | instskip(NEXT) | instid1(VALU_DEP_2)
	v_sub_nc_u32_e32 v1, 0x3f1, v27
	v_or_b32_e32 v5, 0x1000, v26
	s_delay_alu instid0(VALU_DEP_2) | instskip(NEXT) | instid1(VALU_DEP_1)
	v_med3_i32 v1, v1, 0, 13
	v_lshrrev_b32_e32 v28, v1, v5
	s_delay_alu instid0(VALU_DEP_1) | instskip(NEXT) | instid1(VALU_DEP_1)
	v_lshlrev_b32_e32 v1, v1, v28
	v_cmp_ne_u32_e64 s1, v1, v5
	v_lshrrev_b32_e32 v5, 16, v6
	s_waitcnt vmcnt(1)
	s_delay_alu instid0(VALU_DEP_1) | instskip(SKIP_2) | instid1(VALU_DEP_2)
	v_mul_f16_e32 v1, v7, v5
	v_mul_f16_e32 v7, v7, v6
	s_waitcnt vmcnt(0)
	v_fmac_f16_e32 v1, v13, v6
	s_delay_alu instid0(VALU_DEP_2)
	v_fma_f16 v15, v13, v5, -v7
	ds_load_2addr_b32 v[5:6], v196 offset0:16 offset1:65
	v_cvt_f32_f16_e32 v1, v1
	s_waitcnt lgkmcnt(0)
	v_lshrrev_b32_e32 v18, 16, v5
	v_mul_f16_e32 v7, v32, v5
	s_delay_alu instid0(VALU_DEP_1) | instskip(NEXT) | instid1(VALU_DEP_1)
	v_fma_f16 v7, v31, v18, -v7
	v_cvt_f32_f16_e32 v7, v7
	s_delay_alu instid0(VALU_DEP_1) | instskip(NEXT) | instid1(VALU_DEP_1)
	v_cvt_f64_f32_e32 v[13:14], v7
	v_mul_f64 v[13:14], v[13:14], s[10:11]
	s_delay_alu instid0(VALU_DEP_1) | instskip(SKIP_1) | instid1(VALU_DEP_2)
	v_and_or_b32 v7, 0x1ff, v14, v13
	v_lshrrev_b32_e32 v13, 8, v14
	v_cmp_ne_u32_e64 s0, 0, v7
	s_delay_alu instid0(VALU_DEP_1) | instskip(NEXT) | instid1(VALU_DEP_1)
	v_cndmask_b32_e64 v7, 0, 1, s0
	v_and_or_b32 v7, 0xffe, v13, v7
	v_bfe_u32 v13, v14, 20, 11
	s_delay_alu instid0(VALU_DEP_2) | instskip(NEXT) | instid1(VALU_DEP_2)
	v_or_b32_e32 v25, 0x1000, v7
	v_sub_nc_u32_e32 v20, 0x3f1, v13
	v_add_nc_u32_e32 v13, 0xfffffc10, v13
	s_delay_alu instid0(VALU_DEP_2) | instskip(NEXT) | instid1(VALU_DEP_1)
	v_med3_i32 v24, v20, 0, 13
	v_lshrrev_b32_e32 v20, v24, v25
	s_delay_alu instid0(VALU_DEP_1) | instskip(NEXT) | instid1(VALU_DEP_1)
	v_lshlrev_b32_e32 v24, v24, v20
	v_cmp_ne_u32_e64 s0, v24, v25
	v_cvt_f64_f32_e32 v[24:25], v9
	s_delay_alu instid0(VALU_DEP_1) | instskip(NEXT) | instid1(VALU_DEP_1)
	v_mul_f64 v[24:25], v[24:25], s[10:11]
	v_and_or_b32 v9, 0x1ff, v25, v24
	v_lshrrev_b32_e32 v19, 8, v25
	s_delay_alu instid0(VALU_DEP_2) | instskip(NEXT) | instid1(VALU_DEP_1)
	v_cmp_ne_u32_e64 s2, 0, v9
	v_cndmask_b32_e64 v9, 0, 1, s2
	s_delay_alu instid0(VALU_DEP_1) | instskip(SKIP_1) | instid1(VALU_DEP_2)
	v_and_or_b32 v9, 0xffe, v19, v9
	v_bfe_u32 v19, v25, 20, 11
	v_or_b32_e32 v29, 0x1000, v9
	s_delay_alu instid0(VALU_DEP_2) | instskip(SKIP_2) | instid1(VALU_DEP_3)
	v_sub_nc_u32_e32 v24, 0x3f1, v19
	v_add_nc_u32_e32 v19, 0xfffffc10, v19
	v_cmp_ne_u32_e64 s4, 0, v9
	v_med3_i32 v24, v24, 0, 13
	s_delay_alu instid0(VALU_DEP_1) | instskip(NEXT) | instid1(VALU_DEP_1)
	v_lshrrev_b32_e32 v30, v24, v29
	v_lshlrev_b32_e32 v24, v24, v30
	s_delay_alu instid0(VALU_DEP_1) | instskip(SKIP_3) | instid1(VALU_DEP_4)
	v_cmp_ne_u32_e64 s2, v24, v29
	v_lshl_or_b32 v29, v19, 12, v9
	v_cndmask_b32_e64 v9, 0, 1, vcc_lo
	v_cmp_gt_i32_e32 vcc_lo, 1, v16
	v_cndmask_b32_e64 v24, 0, 1, s2
	v_cmp_gt_i32_e64 s2, 1, v19
	s_delay_alu instid0(VALU_DEP_4) | instskip(SKIP_1) | instid1(VALU_DEP_4)
	v_or_b32_e32 v9, v17, v9
	v_lshl_or_b32 v17, v16, 12, v11
	v_or_b32_e32 v24, v30, v24
	scratch_load_b32 v30, off, off offset:232 ; 4-byte Folded Reload
	v_cndmask_b32_e32 v9, v17, v9, vcc_lo
	v_cndmask_b32_e64 v24, v29, v24, s2
	s_delay_alu instid0(VALU_DEP_1) | instskip(SKIP_2) | instid1(VALU_DEP_3)
	v_and_b32_e32 v29, 7, v24
	v_lshrrev_b32_e32 v17, 2, v24
	v_cndmask_b32_e64 v24, 0, 1, s4
	v_cmp_lt_i32_e64 s2, 5, v29
	v_cmp_eq_u32_e64 s3, 3, v29
	s_delay_alu instid0(VALU_DEP_3) | instskip(NEXT) | instid1(VALU_DEP_2)
	v_lshl_or_b32 v24, v24, 9, 0x7c00
	s_or_b32 vcc_lo, s3, s2
	v_cmp_ne_u32_e64 s3, 0, v11
	v_add_co_ci_u32_e32 v17, vcc_lo, 0, v17, vcc_lo
	v_cmp_gt_i32_e32 vcc_lo, 31, v19
	s_delay_alu instid0(VALU_DEP_3) | instskip(NEXT) | instid1(VALU_DEP_3)
	v_cndmask_b32_e64 v11, 0, 1, s3
	v_cndmask_b32_e32 v17, 0x7c00, v17, vcc_lo
	v_cmp_eq_u32_e32 vcc_lo, 0x40f, v19
	v_lshrrev_b32_e32 v19, 16, v25
	s_delay_alu instid0(VALU_DEP_4) | instskip(NEXT) | instid1(VALU_DEP_4)
	v_lshl_or_b32 v11, v11, 9, 0x7c00
	v_dual_cndmask_b32 v17, v17, v24 :: v_dual_and_b32 v24, 7, v9
	v_lshrrev_b32_e32 v9, 2, v9
	s_delay_alu instid0(VALU_DEP_2) | instskip(SKIP_1) | instid1(VALU_DEP_1)
	v_cmp_lt_i32_e32 vcc_lo, 5, v24
	v_cmp_eq_u32_e64 s2, 3, v24
	s_or_b32 vcc_lo, s2, vcc_lo
	s_delay_alu instid0(VALU_DEP_3) | instskip(SKIP_1) | instid1(VALU_DEP_2)
	v_add_co_ci_u32_e32 v9, vcc_lo, 0, v9, vcc_lo
	v_cmp_gt_i32_e32 vcc_lo, 31, v16
	v_cndmask_b32_e32 v9, 0x7c00, v9, vcc_lo
	v_cmp_eq_u32_e32 vcc_lo, 0x40f, v16
	s_delay_alu instid0(VALU_DEP_2) | instskip(SKIP_3) | instid1(VALU_DEP_3)
	v_cndmask_b32_e32 v9, v9, v11, vcc_lo
	v_lshrrev_b32_e32 v11, 16, v12
	v_and_or_b32 v12, 0x8000, v19, v17
	v_cvt_f64_f32_e32 v[16:17], v3
	v_and_or_b32 v9, 0x8000, v11, v9
	s_delay_alu instid0(VALU_DEP_3) | instskip(NEXT) | instid1(VALU_DEP_1)
	v_and_b32_e32 v11, 0xffff, v12
	v_lshl_or_b32 v9, v9, 16, v11
	v_add_co_u32 v11, vcc_lo, v22, s13
	v_add_co_ci_u32_e32 v12, vcc_lo, s12, v23, vcc_lo
	global_store_b32 v[22:23], v9, off
	v_mul_f64 v[16:17], v[16:17], s[10:11]
	s_delay_alu instid0(VALU_DEP_1) | instskip(SKIP_1) | instid1(VALU_DEP_2)
	v_and_or_b32 v3, 0x1ff, v17, v16
	v_lshrrev_b32_e32 v9, 8, v17
	v_cmp_ne_u32_e32 vcc_lo, 0, v3
	v_cndmask_b32_e64 v3, 0, 1, vcc_lo
	s_delay_alu instid0(VALU_DEP_1) | instskip(SKIP_1) | instid1(VALU_DEP_2)
	v_and_or_b32 v3, 0xffe, v9, v3
	v_bfe_u32 v9, v17, 20, 11
	v_or_b32_e32 v19, 0x1000, v3
	s_delay_alu instid0(VALU_DEP_2) | instskip(SKIP_2) | instid1(VALU_DEP_3)
	v_sub_nc_u32_e32 v16, 0x3f1, v9
	v_add_nc_u32_e32 v9, 0xfffffc10, v9
	v_cmp_ne_u32_e64 s2, 0, v3
	v_med3_i32 v16, v16, 0, 13
	s_delay_alu instid0(VALU_DEP_1) | instskip(NEXT) | instid1(VALU_DEP_1)
	v_lshrrev_b32_e32 v22, v16, v19
	v_lshlrev_b32_e32 v16, v16, v22
	s_delay_alu instid0(VALU_DEP_1) | instskip(SKIP_3) | instid1(VALU_DEP_2)
	v_cmp_ne_u32_e32 vcc_lo, v16, v19
	v_lshl_or_b32 v19, v9, 12, v3
	v_cndmask_b32_e64 v16, 0, 1, vcc_lo
	v_cmp_gt_i32_e32 vcc_lo, 1, v9
	v_or_b32_e32 v16, v22, v16
	v_add_nc_u32_e32 v22, 0xfffffc10, v27
	s_delay_alu instid0(VALU_DEP_2) | instskip(SKIP_1) | instid1(VALU_DEP_3)
	v_cndmask_b32_e32 v16, v19, v16, vcc_lo
	v_cndmask_b32_e64 v19, 0, 1, s1
	v_lshl_or_b32 v23, v22, 12, v26
	v_cmp_gt_i32_e32 vcc_lo, 1, v22
	s_delay_alu instid0(VALU_DEP_3) | instskip(NEXT) | instid1(VALU_DEP_1)
	v_or_b32_e32 v19, v28, v19
	v_cndmask_b32_e32 v19, v23, v19, vcc_lo
	v_and_b32_e32 v23, 7, v16
	s_delay_alu instid0(VALU_DEP_2) | instskip(NEXT) | instid1(VALU_DEP_2)
	v_and_b32_e32 v3, 7, v19
	v_cmp_lt_i32_e32 vcc_lo, 5, v23
	v_cmp_eq_u32_e64 s1, 3, v23
	s_delay_alu instid0(VALU_DEP_3) | instskip(SKIP_2) | instid1(VALU_DEP_4)
	v_cmp_lt_i32_e64 s3, 5, v3
	v_cmp_eq_u32_e64 s4, 3, v3
	v_lshrrev_b32_e32 v3, 2, v16
	s_or_b32 vcc_lo, s1, vcc_lo
	v_cndmask_b32_e64 v16, 0, 1, s2
	s_delay_alu instid0(VALU_DEP_3) | instskip(NEXT) | instid1(VALU_DEP_2)
	s_or_b32 s1, s4, s3
	v_add_co_ci_u32_e32 v3, vcc_lo, 0, v3, vcc_lo
	v_cmp_gt_i32_e32 vcc_lo, 31, v9
	s_delay_alu instid0(VALU_DEP_3) | instskip(NEXT) | instid1(VALU_DEP_3)
	v_lshl_or_b32 v16, v16, 9, 0x7c00
	v_cndmask_b32_e32 v3, 0x7c00, v3, vcc_lo
	v_cmp_eq_u32_e32 vcc_lo, 0x40f, v9
	v_lshrrev_b32_e32 v9, 16, v17
	s_delay_alu instid0(VALU_DEP_3)
	v_cndmask_b32_e32 v3, v3, v16, vcc_lo
	v_lshrrev_b32_e32 v16, 2, v19
	v_cmp_ne_u32_e32 vcc_lo, 0, v26
	scratch_load_b32 v19, off, off offset:240 ; 4-byte Folded Reload
	v_and_or_b32 v3, 0x8000, v9, v3
	v_add_co_ci_u32_e64 v16, s1, 0, v16, s1
	v_cmp_gt_i32_e64 s1, 31, v22
	v_cndmask_b32_e64 v17, 0, 1, vcc_lo
	v_cmp_eq_u32_e32 vcc_lo, 0x40f, v22
	v_and_b32_e32 v3, 0xffff, v3
	s_delay_alu instid0(VALU_DEP_4) | instskip(NEXT) | instid1(VALU_DEP_4)
	v_cndmask_b32_e64 v16, 0x7c00, v16, s1
	v_lshl_or_b32 v17, v17, 9, 0x7c00
	s_delay_alu instid0(VALU_DEP_1) | instskip(SKIP_1) | instid1(VALU_DEP_1)
	v_cndmask_b32_e32 v16, v16, v17, vcc_lo
	v_lshrrev_b32_e32 v17, 16, v21
	v_and_or_b32 v9, 0x8000, v17, v16
	s_delay_alu instid0(VALU_DEP_1) | instskip(SKIP_4) | instid1(VALU_DEP_3)
	v_lshl_or_b32 v3, v9, 16, v3
	global_store_b32 v[11:12], v3, off
	v_cvt_f32_f16_e32 v3, v15
	v_add_co_u32 v11, vcc_lo, v11, s13
	v_add_co_ci_u32_e32 v12, vcc_lo, s12, v12, vcc_lo
	v_cvt_f64_f32_e32 v[15:16], v3
	s_delay_alu instid0(VALU_DEP_1) | instskip(NEXT) | instid1(VALU_DEP_1)
	v_mul_f64 v[15:16], v[15:16], s[10:11]
	v_and_or_b32 v3, 0x1ff, v16, v15
	v_lshrrev_b32_e32 v9, 8, v16
	v_bfe_u32 v23, v16, 20, 11
	s_delay_alu instid0(VALU_DEP_3) | instskip(SKIP_1) | instid1(VALU_DEP_1)
	v_cmp_ne_u32_e32 vcc_lo, 0, v3
	v_cndmask_b32_e64 v3, 0, 1, vcc_lo
	v_and_or_b32 v17, 0xffe, v9, v3
	s_delay_alu instid0(VALU_DEP_4) | instskip(NEXT) | instid1(VALU_DEP_2)
	v_sub_nc_u32_e32 v3, 0x3f1, v23
	v_or_b32_e32 v9, 0x1000, v17
	s_delay_alu instid0(VALU_DEP_2) | instskip(NEXT) | instid1(VALU_DEP_1)
	v_med3_i32 v3, v3, 0, 13
	v_lshrrev_b32_e32 v24, v3, v9
	s_delay_alu instid0(VALU_DEP_1) | instskip(NEXT) | instid1(VALU_DEP_1)
	v_lshlrev_b32_e32 v3, v3, v24
	v_cmp_ne_u32_e32 vcc_lo, v3, v9
	scratch_load_b32 v9, off, off offset:244 ; 4-byte Folded Reload
	v_lshrrev_b32_e32 v3, 16, v8
	s_waitcnt vmcnt(0)
	s_delay_alu instid0(VALU_DEP_1) | instskip(SKIP_1) | instid1(VALU_DEP_2)
	v_mul_f16_e32 v15, v9, v3
	v_mul_f16_e32 v9, v9, v8
	v_fmac_f16_e32 v15, v19, v8
	v_mul_f16_e32 v8, v32, v18
	s_delay_alu instid0(VALU_DEP_3)
	v_fma_f16 v3, v19, v3, -v9
	scratch_load_b32 v32, off, off offset:204 ; 4-byte Folded Reload
	v_fmac_f16_e32 v8, v31, v5
	scratch_load_b32 v31, off, off offset:236 ; 4-byte Folded Reload
	v_cvt_f32_f16_e32 v3, v3
	v_cvt_f32_f16_e32 v5, v8
	s_delay_alu instid0(VALU_DEP_1) | instskip(NEXT) | instid1(VALU_DEP_1)
	v_cvt_f64_f32_e32 v[8:9], v5
	v_mul_f64 v[8:9], v[8:9], s[10:11]
	s_delay_alu instid0(VALU_DEP_1) | instskip(SKIP_1) | instid1(VALU_DEP_2)
	v_and_or_b32 v5, 0x1ff, v9, v8
	v_lshrrev_b32_e32 v8, 8, v9
	v_cmp_ne_u32_e64 s1, 0, v5
	s_delay_alu instid0(VALU_DEP_1) | instskip(NEXT) | instid1(VALU_DEP_1)
	v_cndmask_b32_e64 v5, 0, 1, s1
	v_and_or_b32 v5, 0xffe, v8, v5
	v_bfe_u32 v8, v9, 20, 11
	s_delay_alu instid0(VALU_DEP_2) | instskip(NEXT) | instid1(VALU_DEP_2)
	v_or_b32_e32 v19, 0x1000, v5
	v_sub_nc_u32_e32 v18, 0x3f1, v8
	v_add_nc_u32_e32 v8, 0xfffffc10, v8
	v_cmp_ne_u32_e64 s2, 0, v5
	s_delay_alu instid0(VALU_DEP_3) | instskip(NEXT) | instid1(VALU_DEP_1)
	v_med3_i32 v18, v18, 0, 13
	v_lshrrev_b32_e32 v21, v18, v19
	s_delay_alu instid0(VALU_DEP_1) | instskip(NEXT) | instid1(VALU_DEP_1)
	v_lshlrev_b32_e32 v18, v18, v21
	v_cmp_ne_u32_e64 s1, v18, v19
	v_lshl_or_b32 v19, v8, 12, v5
	s_delay_alu instid0(VALU_DEP_2) | instskip(SKIP_1) | instid1(VALU_DEP_2)
	v_cndmask_b32_e64 v18, 0, 1, s1
	v_cmp_gt_i32_e64 s1, 1, v8
	v_or_b32_e32 v18, v21, v18
	s_delay_alu instid0(VALU_DEP_1) | instskip(SKIP_2) | instid1(VALU_DEP_2)
	v_cndmask_b32_e64 v18, v19, v18, s1
	v_cndmask_b32_e64 v19, 0, 1, s0
	v_cmp_gt_i32_e64 s0, 1, v13
	v_or_b32_e32 v19, v20, v19
	v_lshl_or_b32 v20, v13, 12, v7
	s_delay_alu instid0(VALU_DEP_1) | instskip(SKIP_1) | instid1(VALU_DEP_2)
	v_cndmask_b32_e64 v19, v20, v19, s0
	v_and_b32_e32 v20, 7, v18
	v_and_b32_e32 v5, 7, v19
	s_delay_alu instid0(VALU_DEP_2) | instskip(SKIP_1) | instid1(VALU_DEP_3)
	v_cmp_lt_i32_e64 s0, 5, v20
	v_cmp_eq_u32_e64 s1, 3, v20
	v_cmp_lt_i32_e64 s3, 5, v5
	v_cmp_eq_u32_e64 s4, 3, v5
	v_lshrrev_b32_e32 v5, 2, v18
	s_delay_alu instid0(VALU_DEP_4) | instskip(SKIP_1) | instid1(VALU_DEP_3)
	s_or_b32 s0, s1, s0
	v_cndmask_b32_e64 v18, 0, 1, s2
	s_or_b32 s1, s4, s3
	s_delay_alu instid0(VALU_DEP_2) | instskip(SKIP_1) | instid1(VALU_DEP_3)
	v_add_co_ci_u32_e64 v5, s0, 0, v5, s0
	v_cmp_gt_i32_e64 s0, 31, v8
	v_lshl_or_b32 v18, v18, 9, 0x7c00
	s_delay_alu instid0(VALU_DEP_2) | instskip(SKIP_2) | instid1(VALU_DEP_2)
	v_cndmask_b32_e64 v5, 0x7c00, v5, s0
	v_cmp_eq_u32_e64 s0, 0x40f, v8
	v_lshrrev_b32_e32 v8, 2, v19
	v_cndmask_b32_e64 v5, v5, v18, s0
	v_cmp_ne_u32_e64 s0, 0, v7
	s_delay_alu instid0(VALU_DEP_3) | instskip(SKIP_2) | instid1(VALU_DEP_4)
	v_add_co_ci_u32_e64 v8, s1, 0, v8, s1
	v_lshrrev_b32_e32 v7, 16, v9
	v_cmp_gt_i32_e64 s1, 31, v13
	v_cndmask_b32_e64 v9, 0, 1, s0
	v_cmp_eq_u32_e64 s0, 0x40f, v13
	s_delay_alu instid0(VALU_DEP_4) | instskip(NEXT) | instid1(VALU_DEP_4)
	v_and_or_b32 v5, 0x8000, v7, v5
	v_cndmask_b32_e64 v8, 0x7c00, v8, s1
	s_delay_alu instid0(VALU_DEP_4) | instskip(NEXT) | instid1(VALU_DEP_3)
	v_lshl_or_b32 v9, v9, 9, 0x7c00
	v_and_b32_e32 v5, 0xffff, v5
	s_delay_alu instid0(VALU_DEP_2) | instskip(SKIP_2) | instid1(VALU_DEP_1)
	v_cndmask_b32_e64 v8, v8, v9, s0
	v_lshrrev_b32_e32 v9, 16, v14
	v_add_co_u32 v19, s0, v11, s13
	v_add_co_ci_u32_e64 v20, s0, s12, v12, s0
	s_delay_alu instid0(VALU_DEP_3) | instskip(NEXT) | instid1(VALU_DEP_1)
	v_and_or_b32 v7, 0x8000, v9, v8
	v_lshl_or_b32 v5, v7, 16, v5
	ds_load_2addr_b32 v[7:8], v222 offset0:190 offset1:239
	global_store_b32 v[11:12], v5, off
	s_waitcnt lgkmcnt(0)
	v_lshrrev_b32_e32 v25, 16, v7
	s_waitcnt vmcnt(0)
	v_mul_f16_e32 v5, v31, v7
	s_delay_alu instid0(VALU_DEP_1) | instskip(NEXT) | instid1(VALU_DEP_1)
	v_fma_f16 v5, v30, v25, -v5
	v_cvt_f32_f16_e32 v5, v5
	s_delay_alu instid0(VALU_DEP_1) | instskip(NEXT) | instid1(VALU_DEP_1)
	v_cvt_f64_f32_e32 v[11:12], v5
	v_mul_f64 v[21:22], v[11:12], s[10:11]
	v_cvt_f64_f32_e32 v[11:12], v3
	s_delay_alu instid0(VALU_DEP_2) | instskip(NEXT) | instid1(VALU_DEP_2)
	v_and_or_b32 v5, 0x1ff, v22, v21
	v_mul_f64 v[12:13], v[11:12], s[10:11]
	scratch_load_b32 v11, off, off offset:228 ; 4-byte Folded Reload
	v_lshrrev_b32_e32 v9, 8, v22
	v_bfe_u32 v27, v22, 20, 11
	v_cmp_ne_u32_e64 s0, 0, v5
	s_delay_alu instid0(VALU_DEP_1) | instskip(NEXT) | instid1(VALU_DEP_1)
	v_cndmask_b32_e64 v5, 0, 1, s0
	v_and_or_b32 v21, 0xffe, v9, v5
	s_delay_alu instid0(VALU_DEP_4) | instskip(NEXT) | instid1(VALU_DEP_2)
	v_sub_nc_u32_e32 v5, 0x3f1, v27
	v_or_b32_e32 v9, 0x1000, v21
	s_delay_alu instid0(VALU_DEP_2) | instskip(NEXT) | instid1(VALU_DEP_1)
	v_med3_i32 v5, v5, 0, 13
	v_lshrrev_b32_e32 v28, v5, v9
	s_delay_alu instid0(VALU_DEP_1) | instskip(NEXT) | instid1(VALU_DEP_1)
	v_lshlrev_b32_e32 v5, v5, v28
	v_cmp_ne_u32_e64 s1, v5, v9
	v_and_or_b32 v3, 0x1ff, v13, v12
	scratch_load_b32 v12, off, off offset:224 ; 4-byte Folded Reload
	v_lshrrev_b32_e32 v5, 8, v13
	v_bfe_u32 v14, v13, 20, 11
	v_lshrrev_b32_e32 v13, 16, v13
	v_cmp_ne_u32_e64 s0, 0, v3
	s_delay_alu instid0(VALU_DEP_1) | instskip(NEXT) | instid1(VALU_DEP_1)
	v_cndmask_b32_e64 v3, 0, 1, s0
	v_and_or_b32 v5, 0xffe, v5, v3
	v_sub_nc_u32_e32 v3, 0x3f1, v14
	s_delay_alu instid0(VALU_DEP_2) | instskip(NEXT) | instid1(VALU_DEP_2)
	v_or_b32_e32 v9, 0x1000, v5
	v_med3_i32 v3, v3, 0, 13
	s_delay_alu instid0(VALU_DEP_1) | instskip(NEXT) | instid1(VALU_DEP_1)
	v_lshrrev_b32_e32 v18, v3, v9
	v_lshlrev_b32_e32 v3, v3, v18
	s_delay_alu instid0(VALU_DEP_1) | instskip(SKIP_2) | instid1(VALU_DEP_1)
	v_cmp_ne_u32_e64 s0, v3, v9
	v_lshrrev_b32_e32 v9, 16, v10
	s_waitcnt vmcnt(1)
	v_mul_f16_e32 v3, v11, v9
	v_mul_f16_e32 v11, v11, v10
	s_waitcnt vmcnt(0)
	s_delay_alu instid0(VALU_DEP_2) | instskip(NEXT) | instid1(VALU_DEP_2)
	v_fmac_f16_e32 v3, v12, v10
	v_fma_f16 v29, v12, v9, -v11
	v_cvt_f64_f32_e32 v[9:10], v1
	s_delay_alu instid0(VALU_DEP_3) | instskip(NEXT) | instid1(VALU_DEP_2)
	v_cvt_f32_f16_e32 v3, v3
	v_mul_f64 v[9:10], v[9:10], s[10:11]
	s_delay_alu instid0(VALU_DEP_1) | instskip(SKIP_1) | instid1(VALU_DEP_2)
	v_and_or_b32 v1, 0x1ff, v10, v9
	v_lshrrev_b32_e32 v9, 8, v10
	v_cmp_ne_u32_e64 s2, 0, v1
	s_delay_alu instid0(VALU_DEP_1) | instskip(NEXT) | instid1(VALU_DEP_1)
	v_cndmask_b32_e64 v1, 0, 1, s2
	v_and_or_b32 v1, 0xffe, v9, v1
	v_bfe_u32 v9, v10, 20, 11
	v_lshrrev_b32_e32 v10, 16, v10
	s_delay_alu instid0(VALU_DEP_3) | instskip(NEXT) | instid1(VALU_DEP_3)
	v_or_b32_e32 v12, 0x1000, v1
	v_sub_nc_u32_e32 v11, 0x3f1, v9
	v_add_nc_u32_e32 v9, 0xfffffc10, v9
	s_delay_alu instid0(VALU_DEP_2) | instskip(NEXT) | instid1(VALU_DEP_1)
	v_med3_i32 v11, v11, 0, 13
	v_lshrrev_b32_e32 v26, v11, v12
	s_delay_alu instid0(VALU_DEP_1) | instskip(NEXT) | instid1(VALU_DEP_1)
	v_lshlrev_b32_e32 v11, v11, v26
	v_cmp_ne_u32_e64 s2, v11, v12
	v_lshl_or_b32 v12, v9, 12, v1
	s_delay_alu instid0(VALU_DEP_2) | instskip(SKIP_1) | instid1(VALU_DEP_2)
	v_cndmask_b32_e64 v11, 0, 1, s2
	v_cmp_gt_i32_e64 s2, 1, v9
	v_or_b32_e32 v11, v26, v11
	s_delay_alu instid0(VALU_DEP_1) | instskip(NEXT) | instid1(VALU_DEP_1)
	v_cndmask_b32_e64 v11, v12, v11, s2
	v_and_b32_e32 v12, 7, v11
	v_lshrrev_b32_e32 v11, 2, v11
	s_delay_alu instid0(VALU_DEP_2) | instskip(SKIP_4) | instid1(VALU_DEP_4)
	v_cmp_lt_i32_e64 s2, 5, v12
	v_cmp_eq_u32_e64 s3, 3, v12
	v_cndmask_b32_e64 v12, 0, 1, vcc_lo
	v_cmp_ne_u32_e32 vcc_lo, 0, v1
	v_add_nc_u32_e32 v1, 0xfffffc10, v23
	s_or_b32 s2, s3, s2
	s_delay_alu instid0(VALU_DEP_3) | instskip(SKIP_1) | instid1(VALU_DEP_3)
	v_or_b32_e32 v12, v24, v12
	v_add_co_ci_u32_e64 v11, s2, 0, v11, s2
	v_lshl_or_b32 v23, v1, 12, v17
	v_cmp_gt_i32_e64 s4, 1, v1
	v_cmp_gt_i32_e64 s2, 31, v9
	v_cmp_ne_u32_e64 s3, 0, v17
	s_delay_alu instid0(VALU_DEP_3) | instskip(SKIP_1) | instid1(VALU_DEP_4)
	v_cndmask_b32_e64 v12, v23, v12, s4
	v_cndmask_b32_e64 v23, 0, 1, vcc_lo
	v_cndmask_b32_e64 v11, 0x7c00, v11, s2
	v_cmp_eq_u32_e32 vcc_lo, 0x40f, v9
	s_delay_alu instid0(VALU_DEP_3) | instskip(NEXT) | instid1(VALU_DEP_1)
	v_lshl_or_b32 v23, v23, 9, 0x7c00
	v_cndmask_b32_e32 v9, v11, v23, vcc_lo
	v_and_b32_e32 v11, 7, v12
	s_delay_alu instid0(VALU_DEP_2) | instskip(NEXT) | instid1(VALU_DEP_2)
	v_and_or_b32 v9, 0x8000, v10, v9
	v_cmp_lt_i32_e32 vcc_lo, 5, v11
	v_cmp_eq_u32_e64 s2, 3, v11
	v_lshrrev_b32_e32 v11, 2, v12
	v_cndmask_b32_e64 v12, 0, 1, s3
	v_and_b32_e32 v9, 0xffff, v9
	s_delay_alu instid0(VALU_DEP_4) | instskip(NEXT) | instid1(VALU_DEP_3)
	s_or_b32 vcc_lo, s2, vcc_lo
	v_add_co_ci_u32_e32 v11, vcc_lo, 0, v11, vcc_lo
	v_cmp_gt_i32_e32 vcc_lo, 31, v1
	v_lshl_or_b32 v12, v12, 9, 0x7c00
	s_delay_alu instid0(VALU_DEP_3) | instskip(SKIP_1) | instid1(VALU_DEP_2)
	v_cndmask_b32_e32 v11, 0x7c00, v11, vcc_lo
	v_cmp_eq_u32_e32 vcc_lo, 0x40f, v1
	v_cndmask_b32_e32 v1, v11, v12, vcc_lo
	v_lshrrev_b32_e32 v11, 16, v16
	v_add_co_u32 v23, vcc_lo, v19, s13
	v_add_co_ci_u32_e32 v24, vcc_lo, s12, v20, vcc_lo
	s_delay_alu instid0(VALU_DEP_3) | instskip(NEXT) | instid1(VALU_DEP_1)
	v_and_or_b32 v1, 0x8000, v11, v1
	v_lshl_or_b32 v1, v1, 16, v9
	ds_load_2addr_b32 v[9:10], v186 offset0:108 offset1:157
	global_store_b32 v[19:20], v1, off
	s_waitcnt lgkmcnt(0)
	v_lshrrev_b32_e32 v20, 16, v9
	v_mul_f16_e32 v1, v34, v9
	s_delay_alu instid0(VALU_DEP_1) | instskip(NEXT) | instid1(VALU_DEP_1)
	v_fma_f16 v1, v33, v20, -v1
	v_cvt_f32_f16_e32 v1, v1
	s_delay_alu instid0(VALU_DEP_1) | instskip(NEXT) | instid1(VALU_DEP_1)
	v_cvt_f64_f32_e32 v[11:12], v1
	v_mul_f64 v[11:12], v[11:12], s[10:11]
	s_delay_alu instid0(VALU_DEP_1) | instskip(SKIP_2) | instid1(VALU_DEP_3)
	v_and_or_b32 v1, 0x1ff, v12, v11
	v_lshrrev_b32_e32 v11, 8, v12
	v_bfe_u32 v16, v12, 20, 11
	v_cmp_ne_u32_e32 vcc_lo, 0, v1
	v_cndmask_b32_e64 v1, 0, 1, vcc_lo
	s_delay_alu instid0(VALU_DEP_1) | instskip(NEXT) | instid1(VALU_DEP_4)
	v_and_or_b32 v11, 0xffe, v11, v1
	v_sub_nc_u32_e32 v1, 0x3f1, v16
	v_add_nc_u32_e32 v16, 0xfffffc10, v16
	s_delay_alu instid0(VALU_DEP_3) | instskip(NEXT) | instid1(VALU_DEP_3)
	v_or_b32_e32 v19, 0x1000, v11
	v_med3_i32 v1, v1, 0, 13
	s_delay_alu instid0(VALU_DEP_1) | instskip(NEXT) | instid1(VALU_DEP_1)
	v_lshrrev_b32_e32 v17, v1, v19
	v_lshlrev_b32_e32 v1, v1, v17
	s_delay_alu instid0(VALU_DEP_1) | instskip(SKIP_3) | instid1(VALU_DEP_1)
	v_cmp_ne_u32_e32 vcc_lo, v1, v19
	v_mul_f16_e32 v1, v31, v25
	scratch_load_b32 v31, off, off offset:200 ; 4-byte Folded Reload
	v_fmac_f16_e32 v1, v30, v7
	v_cvt_f32_f16_e32 v1, v1
	s_delay_alu instid0(VALU_DEP_1) | instskip(NEXT) | instid1(VALU_DEP_1)
	v_cvt_f64_f32_e32 v[25:26], v1
	v_mul_f64 v[25:26], v[25:26], s[10:11]
	s_delay_alu instid0(VALU_DEP_1) | instskip(SKIP_1) | instid1(VALU_DEP_2)
	v_and_or_b32 v1, 0x1ff, v26, v25
	v_lshrrev_b32_e32 v7, 8, v26
	v_cmp_ne_u32_e64 s2, 0, v1
	s_delay_alu instid0(VALU_DEP_1) | instskip(NEXT) | instid1(VALU_DEP_1)
	v_cndmask_b32_e64 v1, 0, 1, s2
	v_and_or_b32 v1, 0xffe, v7, v1
	v_bfe_u32 v7, v26, 20, 11
	s_delay_alu instid0(VALU_DEP_2) | instskip(NEXT) | instid1(VALU_DEP_2)
	v_or_b32_e32 v25, 0x1000, v1
	v_sub_nc_u32_e32 v19, 0x3f1, v7
	v_add_nc_u32_e32 v7, 0xfffffc10, v7
	s_delay_alu instid0(VALU_DEP_2) | instskip(NEXT) | instid1(VALU_DEP_1)
	v_med3_i32 v19, v19, 0, 13
	v_lshrrev_b32_e32 v30, v19, v25
	s_delay_alu instid0(VALU_DEP_1) | instskip(NEXT) | instid1(VALU_DEP_1)
	v_lshlrev_b32_e32 v19, v19, v30
	v_cmp_ne_u32_e64 s2, v19, v25
	v_lshl_or_b32 v25, v7, 12, v1
	s_delay_alu instid0(VALU_DEP_2) | instskip(SKIP_1) | instid1(VALU_DEP_2)
	v_cndmask_b32_e64 v19, 0, 1, s2
	v_cmp_gt_i32_e64 s2, 1, v7
	v_or_b32_e32 v19, v30, v19
	s_delay_alu instid0(VALU_DEP_1) | instskip(NEXT) | instid1(VALU_DEP_1)
	v_cndmask_b32_e64 v19, v25, v19, s2
	v_and_b32_e32 v25, 7, v19
	v_lshrrev_b32_e32 v19, 2, v19
	s_delay_alu instid0(VALU_DEP_2) | instskip(SKIP_4) | instid1(VALU_DEP_4)
	v_cmp_lt_i32_e64 s2, 5, v25
	v_cmp_eq_u32_e64 s3, 3, v25
	v_cndmask_b32_e64 v25, 0, 1, s1
	v_cmp_ne_u32_e64 s1, 0, v1
	v_add_nc_u32_e32 v1, 0xfffffc10, v27
	s_or_b32 s2, s3, s2
	s_delay_alu instid0(VALU_DEP_3) | instskip(SKIP_1) | instid1(VALU_DEP_3)
	v_or_b32_e32 v25, v28, v25
	v_add_co_ci_u32_e64 v19, s2, 0, v19, s2
	v_lshl_or_b32 v27, v1, 12, v21
	v_cmp_gt_i32_e64 s4, 1, v1
	v_cmp_gt_i32_e64 s2, 31, v7
	v_cmp_ne_u32_e64 s3, 0, v21
	s_delay_alu instid0(VALU_DEP_3) | instskip(SKIP_1) | instid1(VALU_DEP_4)
	v_cndmask_b32_e64 v25, v27, v25, s4
	v_cndmask_b32_e64 v27, 0, 1, s1
	;; [unrolled: 1-line block ×3, first 2 shown]
	v_cmp_eq_u32_e64 s1, 0x40f, v7
	s_delay_alu instid0(VALU_DEP_4) | instskip(NEXT) | instid1(VALU_DEP_4)
	v_lshrrev_b32_e32 v21, 2, v25
	v_lshl_or_b32 v27, v27, 9, 0x7c00
	s_delay_alu instid0(VALU_DEP_1) | instskip(SKIP_3) | instid1(VALU_DEP_3)
	v_cndmask_b32_e64 v7, v19, v27, s1
	v_lshrrev_b32_e32 v19, 16, v26
	v_and_b32_e32 v26, 7, v25
	v_cndmask_b32_e64 v25, 0, 1, s3
	v_and_or_b32 v7, 0x8000, v19, v7
	s_delay_alu instid0(VALU_DEP_3) | instskip(SKIP_1) | instid1(VALU_DEP_4)
	v_cmp_lt_i32_e64 s1, 5, v26
	v_cmp_eq_u32_e64 s2, 3, v26
	v_lshl_or_b32 v25, v25, 9, 0x7c00
	s_delay_alu instid0(VALU_DEP_4) | instskip(NEXT) | instid1(VALU_DEP_3)
	v_and_b32_e32 v7, 0xffff, v7
	s_or_b32 s1, s2, s1
	s_delay_alu instid0(SALU_CYCLE_1) | instskip(SKIP_1) | instid1(VALU_DEP_1)
	v_add_co_ci_u32_e64 v21, s1, 0, v21, s1
	v_cmp_gt_i32_e64 s1, 31, v1
	v_cndmask_b32_e64 v21, 0x7c00, v21, s1
	v_cmp_eq_u32_e64 s1, 0x40f, v1
	s_delay_alu instid0(VALU_DEP_1) | instskip(SKIP_1) | instid1(VALU_DEP_1)
	v_cndmask_b32_e64 v1, v21, v25, s1
	v_lshrrev_b32_e32 v21, 16, v22
	v_and_or_b32 v1, 0x8000, v21, v1
	v_add_co_u32 v21, s1, v23, s13
	s_delay_alu instid0(VALU_DEP_1) | instskip(NEXT) | instid1(VALU_DEP_3)
	v_add_co_ci_u32_e64 v22, s1, s12, v24, s1
	v_lshl_or_b32 v1, v1, 16, v7
	global_store_b32 v[23:24], v1, off
	v_cvt_f32_f16_e32 v1, v15
	s_delay_alu instid0(VALU_DEP_1) | instskip(NEXT) | instid1(VALU_DEP_1)
	v_cvt_f64_f32_e32 v[23:24], v1
	v_mul_f64 v[23:24], v[23:24], s[10:11]
	s_delay_alu instid0(VALU_DEP_1) | instskip(SKIP_1) | instid1(VALU_DEP_2)
	v_and_or_b32 v1, 0x1ff, v24, v23
	v_lshrrev_b32_e32 v7, 8, v24
	v_cmp_ne_u32_e64 s1, 0, v1
	s_delay_alu instid0(VALU_DEP_1) | instskip(NEXT) | instid1(VALU_DEP_1)
	v_cndmask_b32_e64 v1, 0, 1, s1
	v_and_or_b32 v1, 0xffe, v7, v1
	v_bfe_u32 v7, v24, 20, 11
	s_delay_alu instid0(VALU_DEP_2) | instskip(NEXT) | instid1(VALU_DEP_2)
	v_or_b32_e32 v19, 0x1000, v1
	v_sub_nc_u32_e32 v15, 0x3f1, v7
	v_add_nc_u32_e32 v7, 0xfffffc10, v7
	s_delay_alu instid0(VALU_DEP_2) | instskip(NEXT) | instid1(VALU_DEP_1)
	v_med3_i32 v15, v15, 0, 13
	v_lshrrev_b32_e32 v23, v15, v19
	s_delay_alu instid0(VALU_DEP_1) | instskip(NEXT) | instid1(VALU_DEP_1)
	v_lshlrev_b32_e32 v15, v15, v23
	v_cmp_ne_u32_e64 s1, v15, v19
	v_lshl_or_b32 v19, v7, 12, v1
	s_delay_alu instid0(VALU_DEP_2) | instskip(SKIP_1) | instid1(VALU_DEP_2)
	v_cndmask_b32_e64 v15, 0, 1, s1
	v_cmp_gt_i32_e64 s1, 1, v7
	v_or_b32_e32 v15, v23, v15
	s_delay_alu instid0(VALU_DEP_1) | instskip(NEXT) | instid1(VALU_DEP_1)
	v_cndmask_b32_e64 v15, v19, v15, s1
	v_and_b32_e32 v19, 7, v15
	v_lshrrev_b32_e32 v15, 2, v15
	s_delay_alu instid0(VALU_DEP_2) | instskip(SKIP_4) | instid1(VALU_DEP_4)
	v_cmp_lt_i32_e64 s1, 5, v19
	v_cmp_eq_u32_e64 s2, 3, v19
	v_cndmask_b32_e64 v19, 0, 1, s0
	v_cmp_ne_u32_e64 s0, 0, v1
	v_add_nc_u32_e32 v1, 0xfffffc10, v14
	s_or_b32 s1, s2, s1
	s_delay_alu instid0(VALU_DEP_3) | instskip(SKIP_1) | instid1(VALU_DEP_3)
	v_or_b32_e32 v18, v18, v19
	v_add_co_ci_u32_e64 v15, s1, 0, v15, s1
	v_lshl_or_b32 v14, v1, 12, v5
	v_cmp_gt_i32_e64 s3, 1, v1
	v_cmp_gt_i32_e64 s1, 31, v7
	v_cmp_ne_u32_e64 s2, 0, v5
	v_lshrrev_b32_e32 v5, 16, v24
	s_delay_alu instid0(VALU_DEP_4) | instskip(SKIP_3) | instid1(VALU_DEP_3)
	v_cndmask_b32_e64 v14, v14, v18, s3
	v_cndmask_b32_e64 v18, 0, 1, s0
	;; [unrolled: 1-line block ×3, first 2 shown]
	v_cmp_eq_u32_e64 s0, 0x40f, v7
	v_lshl_or_b32 v18, v18, 9, 0x7c00
	s_delay_alu instid0(VALU_DEP_1) | instskip(SKIP_2) | instid1(VALU_DEP_3)
	v_cndmask_b32_e64 v7, v15, v18, s0
	v_and_b32_e32 v15, 7, v14
	v_lshrrev_b32_e32 v14, 2, v14
	v_and_or_b32 v5, 0x8000, v5, v7
	s_delay_alu instid0(VALU_DEP_3)
	v_cmp_lt_i32_e64 s0, 5, v15
	v_cmp_eq_u32_e64 s1, 3, v15
	v_cndmask_b32_e64 v15, 0, 1, s2
	scratch_load_b32 v7, off, off offset:212 ; 4-byte Folded Reload
	v_and_b32_e32 v5, 0xffff, v5
	s_or_b32 s0, s1, s0
	v_lshl_or_b32 v15, v15, 9, 0x7c00
	v_add_co_ci_u32_e64 v14, s0, 0, v14, s0
	v_cmp_gt_i32_e64 s0, 31, v1
	s_delay_alu instid0(VALU_DEP_1) | instskip(SKIP_1) | instid1(VALU_DEP_1)
	v_cndmask_b32_e64 v14, 0x7c00, v14, s0
	v_cmp_eq_u32_e64 s0, 0x40f, v1
	v_cndmask_b32_e64 v1, v14, v15, s0
	v_add_co_u32 v23, s0, v21, s13
	s_delay_alu instid0(VALU_DEP_1) | instskip(NEXT) | instid1(VALU_DEP_3)
	v_add_co_ci_u32_e64 v24, s0, s12, v22, s0
	v_and_or_b32 v1, 0x8000, v13, v1
	s_delay_alu instid0(VALU_DEP_1) | instskip(SKIP_2) | instid1(VALU_DEP_1)
	v_lshl_or_b32 v1, v1, 16, v5
	global_store_b32 v[21:22], v1, off
	v_cvt_f32_f16_e32 v1, v29
	v_cvt_f64_f32_e32 v[13:14], v1
	s_delay_alu instid0(VALU_DEP_1) | instskip(SKIP_4) | instid1(VALU_DEP_3)
	v_mul_f64 v[21:22], v[13:14], s[10:11]
	scratch_load_b32 v13, off, off offset:208 ; 4-byte Folded Reload
	v_and_or_b32 v1, 0x1ff, v22, v21
	v_lshrrev_b32_e32 v5, 8, v22
	v_bfe_u32 v28, v22, 20, 11
	v_cmp_ne_u32_e64 s0, 0, v1
	s_delay_alu instid0(VALU_DEP_1) | instskip(NEXT) | instid1(VALU_DEP_1)
	v_cndmask_b32_e64 v1, 0, 1, s0
	v_and_or_b32 v27, 0xffe, v5, v1
	s_delay_alu instid0(VALU_DEP_4) | instskip(NEXT) | instid1(VALU_DEP_2)
	v_sub_nc_u32_e32 v1, 0x3f1, v28
	v_or_b32_e32 v5, 0x1000, v27
	s_delay_alu instid0(VALU_DEP_2) | instskip(NEXT) | instid1(VALU_DEP_1)
	v_med3_i32 v1, v1, 0, 13
	v_lshrrev_b32_e32 v29, v1, v5
	s_delay_alu instid0(VALU_DEP_1) | instskip(NEXT) | instid1(VALU_DEP_1)
	v_lshlrev_b32_e32 v1, v1, v29
	v_cmp_ne_u32_e64 s1, v1, v5
	v_lshrrev_b32_e32 v5, 16, v6
	s_waitcnt vmcnt(1)
	s_delay_alu instid0(VALU_DEP_1) | instskip(SKIP_2) | instid1(VALU_DEP_2)
	v_mul_f16_e32 v1, v7, v5
	v_mul_f16_e32 v7, v7, v6
	s_waitcnt vmcnt(0)
	v_fmac_f16_e32 v1, v13, v6
	s_delay_alu instid0(VALU_DEP_2)
	v_fma_f16 v19, v13, v5, -v7
	ds_load_2addr_b32 v[5:6], v238 offset0:106 offset1:155
	v_cvt_f32_f16_e32 v1, v1
	s_waitcnt lgkmcnt(0)
	v_lshrrev_b32_e32 v18, 16, v5
	v_mul_f16_e32 v7, v32, v5
	s_delay_alu instid0(VALU_DEP_1) | instskip(NEXT) | instid1(VALU_DEP_1)
	v_fma_f16 v7, v31, v18, -v7
	v_cvt_f32_f16_e32 v7, v7
	s_delay_alu instid0(VALU_DEP_1) | instskip(NEXT) | instid1(VALU_DEP_1)
	v_cvt_f64_f32_e32 v[13:14], v7
	v_mul_f64 v[13:14], v[13:14], s[10:11]
	s_delay_alu instid0(VALU_DEP_1) | instskip(SKIP_2) | instid1(VALU_DEP_3)
	v_and_or_b32 v7, 0x1ff, v14, v13
	v_lshrrev_b32_e32 v13, 8, v14
	v_bfe_u32 v15, v14, 20, 11
	v_cmp_ne_u32_e64 s0, 0, v7
	s_delay_alu instid0(VALU_DEP_1) | instskip(NEXT) | instid1(VALU_DEP_1)
	v_cndmask_b32_e64 v7, 0, 1, s0
	v_and_or_b32 v7, 0xffe, v13, v7
	s_delay_alu instid0(VALU_DEP_4) | instskip(SKIP_1) | instid1(VALU_DEP_3)
	v_sub_nc_u32_e32 v13, 0x3f1, v15
	v_add_nc_u32_e32 v15, 0xfffffc10, v15
	v_or_b32_e32 v25, 0x1000, v7
	s_delay_alu instid0(VALU_DEP_3) | instskip(NEXT) | instid1(VALU_DEP_1)
	v_med3_i32 v13, v13, 0, 13
	v_lshrrev_b32_e32 v21, v13, v25
	s_delay_alu instid0(VALU_DEP_1) | instskip(NEXT) | instid1(VALU_DEP_1)
	v_lshlrev_b32_e32 v13, v13, v21
	v_cmp_ne_u32_e64 s0, v13, v25
	v_mul_f16_e32 v13, v34, v20
	scratch_load_b32 v34, off, off offset:136 ; 4-byte Folded Reload
	v_fmac_f16_e32 v13, v33, v9
	scratch_load_b32 v33, off, off offset:188 ; 4-byte Folded Reload
	v_cvt_f32_f16_e32 v9, v13
	s_delay_alu instid0(VALU_DEP_1) | instskip(NEXT) | instid1(VALU_DEP_1)
	v_cvt_f64_f32_e32 v[25:26], v9
	v_mul_f64 v[25:26], v[25:26], s[10:11]
	s_delay_alu instid0(VALU_DEP_1) | instskip(SKIP_1) | instid1(VALU_DEP_2)
	v_and_or_b32 v9, 0x1ff, v26, v25
	v_lshrrev_b32_e32 v13, 8, v26
	v_cmp_ne_u32_e64 s2, 0, v9
	s_delay_alu instid0(VALU_DEP_1) | instskip(NEXT) | instid1(VALU_DEP_1)
	v_cndmask_b32_e64 v9, 0, 1, s2
	v_and_or_b32 v9, 0xffe, v13, v9
	v_bfe_u32 v13, v26, 20, 11
	s_delay_alu instid0(VALU_DEP_2) | instskip(NEXT) | instid1(VALU_DEP_2)
	v_or_b32_e32 v25, 0x1000, v9
	v_sub_nc_u32_e32 v20, 0x3f1, v13
	v_add_nc_u32_e32 v13, 0xfffffc10, v13
	v_cmp_ne_u32_e64 s4, 0, v9
	s_delay_alu instid0(VALU_DEP_3) | instskip(NEXT) | instid1(VALU_DEP_1)
	v_med3_i32 v20, v20, 0, 13
	v_lshrrev_b32_e32 v30, v20, v25
	s_delay_alu instid0(VALU_DEP_1) | instskip(NEXT) | instid1(VALU_DEP_1)
	v_lshlrev_b32_e32 v20, v20, v30
	v_cmp_ne_u32_e64 s2, v20, v25
	v_lshl_or_b32 v25, v13, 12, v9
	v_cndmask_b32_e64 v9, 0, 1, vcc_lo
	v_cmp_gt_i32_e32 vcc_lo, 1, v16
	s_delay_alu instid0(VALU_DEP_4) | instskip(SKIP_1) | instid1(VALU_DEP_4)
	v_cndmask_b32_e64 v20, 0, 1, s2
	v_cmp_gt_i32_e64 s2, 1, v13
	v_or_b32_e32 v9, v17, v9
	v_lshl_or_b32 v17, v16, 12, v11
	s_delay_alu instid0(VALU_DEP_4) | instskip(SKIP_3) | instid1(VALU_DEP_1)
	v_or_b32_e32 v20, v30, v20
	scratch_load_b32 v30, off, off offset:184 ; 4-byte Folded Reload
	v_cndmask_b32_e32 v9, v17, v9, vcc_lo
	v_cndmask_b32_e64 v20, v25, v20, s2
	v_and_b32_e32 v25, 7, v20
	v_lshrrev_b32_e32 v17, 2, v20
	v_cndmask_b32_e64 v20, 0, 1, s4
	s_delay_alu instid0(VALU_DEP_3) | instskip(SKIP_1) | instid1(VALU_DEP_3)
	v_cmp_lt_i32_e64 s2, 5, v25
	v_cmp_eq_u32_e64 s3, 3, v25
	v_lshl_or_b32 v20, v20, 9, 0x7c00
	s_delay_alu instid0(VALU_DEP_2) | instskip(SKIP_3) | instid1(VALU_DEP_3)
	s_or_b32 vcc_lo, s3, s2
	v_cmp_ne_u32_e64 s3, 0, v11
	v_add_co_ci_u32_e32 v17, vcc_lo, 0, v17, vcc_lo
	v_cmp_gt_i32_e32 vcc_lo, 31, v13
	v_cndmask_b32_e64 v11, 0, 1, s3
	s_delay_alu instid0(VALU_DEP_3) | instskip(SKIP_1) | instid1(VALU_DEP_3)
	v_cndmask_b32_e32 v17, 0x7c00, v17, vcc_lo
	v_cmp_eq_u32_e32 vcc_lo, 0x40f, v13
	v_lshl_or_b32 v11, v11, 9, 0x7c00
	s_delay_alu instid0(VALU_DEP_3) | instskip(SKIP_2) | instid1(VALU_DEP_3)
	v_dual_cndmask_b32 v13, v17, v20 :: v_dual_and_b32 v20, 7, v9
	v_lshrrev_b32_e32 v9, 2, v9
	v_lshrrev_b32_e32 v17, 16, v26
	v_cmp_lt_i32_e32 vcc_lo, 5, v20
	v_cmp_eq_u32_e64 s2, 3, v20
	s_delay_alu instid0(VALU_DEP_1) | instskip(SKIP_2) | instid1(VALU_DEP_2)
	s_or_b32 vcc_lo, s2, vcc_lo
	v_add_co_ci_u32_e32 v9, vcc_lo, 0, v9, vcc_lo
	v_cmp_gt_i32_e32 vcc_lo, 31, v16
	v_cndmask_b32_e32 v9, 0x7c00, v9, vcc_lo
	v_cmp_eq_u32_e32 vcc_lo, 0x40f, v16
	s_delay_alu instid0(VALU_DEP_2) | instskip(SKIP_3) | instid1(VALU_DEP_3)
	v_cndmask_b32_e32 v9, v9, v11, vcc_lo
	v_lshrrev_b32_e32 v11, 16, v12
	v_and_or_b32 v12, 0x8000, v17, v13
	v_cvt_f64_f32_e32 v[16:17], v3
	v_and_or_b32 v9, 0x8000, v11, v9
	s_delay_alu instid0(VALU_DEP_3) | instskip(NEXT) | instid1(VALU_DEP_1)
	v_and_b32_e32 v11, 0xffff, v12
	v_lshl_or_b32 v9, v9, 16, v11
	v_add_co_u32 v11, vcc_lo, v23, s8
	v_add_co_ci_u32_e32 v12, vcc_lo, s9, v24, vcc_lo
	global_store_b32 v[23:24], v9, off
	v_mul_f64 v[16:17], v[16:17], s[10:11]
	s_delay_alu instid0(VALU_DEP_1) | instskip(SKIP_1) | instid1(VALU_DEP_2)
	v_and_or_b32 v3, 0x1ff, v17, v16
	v_lshrrev_b32_e32 v9, 8, v17
	v_cmp_ne_u32_e32 vcc_lo, 0, v3
	v_cndmask_b32_e64 v3, 0, 1, vcc_lo
	s_delay_alu instid0(VALU_DEP_1) | instskip(SKIP_1) | instid1(VALU_DEP_2)
	v_and_or_b32 v3, 0xffe, v9, v3
	v_bfe_u32 v9, v17, 20, 11
	v_or_b32_e32 v16, 0x1000, v3
	s_delay_alu instid0(VALU_DEP_2) | instskip(SKIP_2) | instid1(VALU_DEP_3)
	v_sub_nc_u32_e32 v13, 0x3f1, v9
	v_add_nc_u32_e32 v9, 0xfffffc10, v9
	v_cmp_ne_u32_e64 s2, 0, v3
	v_med3_i32 v13, v13, 0, 13
	s_delay_alu instid0(VALU_DEP_1) | instskip(NEXT) | instid1(VALU_DEP_1)
	v_lshrrev_b32_e32 v20, v13, v16
	v_lshlrev_b32_e32 v13, v13, v20
	s_delay_alu instid0(VALU_DEP_1) | instskip(SKIP_3) | instid1(VALU_DEP_2)
	v_cmp_ne_u32_e32 vcc_lo, v13, v16
	v_lshl_or_b32 v16, v9, 12, v3
	v_cndmask_b32_e64 v13, 0, 1, vcc_lo
	v_cmp_gt_i32_e32 vcc_lo, 1, v9
	v_or_b32_e32 v13, v20, v13
	s_delay_alu instid0(VALU_DEP_1) | instskip(SKIP_1) | instid1(VALU_DEP_2)
	v_dual_cndmask_b32 v13, v16, v13 :: v_dual_add_nc_u32 v20, 0xfffffc10, v28
	v_cndmask_b32_e64 v16, 0, 1, s1
	v_lshl_or_b32 v23, v20, 12, v27
	v_cmp_gt_i32_e32 vcc_lo, 1, v20
	s_delay_alu instid0(VALU_DEP_3) | instskip(NEXT) | instid1(VALU_DEP_1)
	v_or_b32_e32 v16, v29, v16
	v_dual_cndmask_b32 v16, v23, v16 :: v_dual_and_b32 v23, 7, v13
	s_delay_alu instid0(VALU_DEP_1) | instskip(NEXT) | instid1(VALU_DEP_2)
	v_and_b32_e32 v3, 7, v16
	v_cmp_lt_i32_e32 vcc_lo, 5, v23
	v_cmp_eq_u32_e64 s1, 3, v23
	s_delay_alu instid0(VALU_DEP_3) | instskip(SKIP_2) | instid1(VALU_DEP_4)
	v_cmp_lt_i32_e64 s3, 5, v3
	v_cmp_eq_u32_e64 s4, 3, v3
	v_lshrrev_b32_e32 v3, 2, v13
	s_or_b32 vcc_lo, s1, vcc_lo
	v_cndmask_b32_e64 v13, 0, 1, s2
	s_delay_alu instid0(VALU_DEP_3) | instskip(NEXT) | instid1(VALU_DEP_2)
	s_or_b32 s1, s4, s3
	v_add_co_ci_u32_e32 v3, vcc_lo, 0, v3, vcc_lo
	v_cmp_gt_i32_e32 vcc_lo, 31, v9
	s_delay_alu instid0(VALU_DEP_3) | instskip(NEXT) | instid1(VALU_DEP_3)
	v_lshl_or_b32 v13, v13, 9, 0x7c00
	v_cndmask_b32_e32 v3, 0x7c00, v3, vcc_lo
	v_cmp_eq_u32_e32 vcc_lo, 0x40f, v9
	v_lshrrev_b32_e32 v9, 16, v17
	s_delay_alu instid0(VALU_DEP_3)
	v_cndmask_b32_e32 v3, v3, v13, vcc_lo
	v_lshrrev_b32_e32 v13, 2, v16
	v_cmp_ne_u32_e32 vcc_lo, 0, v27
	scratch_load_b32 v27, off, off offset:176 ; 4-byte Folded Reload
	v_and_or_b32 v3, 0x8000, v9, v3
	v_add_co_ci_u32_e64 v13, s1, 0, v13, s1
	v_cmp_gt_i32_e64 s1, 31, v20
	v_cndmask_b32_e64 v16, 0, 1, vcc_lo
	v_cmp_eq_u32_e32 vcc_lo, 0x40f, v20
	v_and_b32_e32 v3, 0xffff, v3
	s_delay_alu instid0(VALU_DEP_4) | instskip(NEXT) | instid1(VALU_DEP_4)
	v_cndmask_b32_e64 v13, 0x7c00, v13, s1
	v_lshl_or_b32 v16, v16, 9, 0x7c00
	s_delay_alu instid0(VALU_DEP_1) | instskip(SKIP_1) | instid1(VALU_DEP_1)
	v_cndmask_b32_e32 v13, v13, v16, vcc_lo
	v_lshrrev_b32_e32 v16, 16, v22
	v_and_or_b32 v9, 0x8000, v16, v13
	s_delay_alu instid0(VALU_DEP_1) | instskip(SKIP_4) | instid1(VALU_DEP_3)
	v_lshl_or_b32 v3, v9, 16, v3
	global_store_b32 v[11:12], v3, off
	v_cvt_f32_f16_e32 v3, v19
	v_add_co_u32 v11, vcc_lo, v11, s13
	v_add_co_ci_u32_e32 v12, vcc_lo, s12, v12, vcc_lo
	v_cvt_f64_f32_e32 v[16:17], v3
	s_delay_alu instid0(VALU_DEP_1) | instskip(NEXT) | instid1(VALU_DEP_1)
	v_mul_f64 v[16:17], v[16:17], s[10:11]
	v_and_or_b32 v3, 0x1ff, v17, v16
	v_lshrrev_b32_e32 v9, 8, v17
	v_bfe_u32 v22, v17, 20, 11
	scratch_load_b32 v16, off, off offset:192 ; 4-byte Folded Reload
	v_cmp_ne_u32_e32 vcc_lo, 0, v3
	v_cndmask_b32_e64 v3, 0, 1, vcc_lo
	s_delay_alu instid0(VALU_DEP_1) | instskip(SKIP_1) | instid1(VALU_DEP_2)
	v_and_or_b32 v20, 0xffe, v9, v3
	v_sub_nc_u32_e32 v3, 0x3f1, v22
	v_or_b32_e32 v9, 0x1000, v20
	s_delay_alu instid0(VALU_DEP_2) | instskip(NEXT) | instid1(VALU_DEP_1)
	v_med3_i32 v3, v3, 0, 13
	v_lshrrev_b32_e32 v23, v3, v9
	s_delay_alu instid0(VALU_DEP_1) | instskip(NEXT) | instid1(VALU_DEP_1)
	v_lshlrev_b32_e32 v3, v3, v23
	v_cmp_ne_u32_e64 s1, v3, v9
	scratch_load_b32 v9, off, off offset:196 ; 4-byte Folded Reload
	v_lshrrev_b32_e32 v3, 16, v8
	s_waitcnt vmcnt(0)
	s_delay_alu instid0(VALU_DEP_1) | instskip(SKIP_1) | instid1(VALU_DEP_2)
	v_mul_f16_e32 v13, v9, v3
	v_mul_f16_e32 v9, v9, v8
	v_fmac_f16_e32 v13, v16, v8
	v_mul_f16_e32 v8, v32, v18
	s_delay_alu instid0(VALU_DEP_3)
	v_fma_f16 v3, v16, v3, -v9
	scratch_load_b32 v32, off, off offset:172 ; 4-byte Folded Reload
	v_cvt_f32_f16_e32 v13, v13
	v_fmac_f16_e32 v8, v31, v5
	v_cvt_f32_f16_e32 v3, v3
	scratch_load_b32 v31, off, off offset:168 ; 4-byte Folded Reload
	v_cvt_f32_f16_e32 v5, v8
	s_delay_alu instid0(VALU_DEP_1) | instskip(NEXT) | instid1(VALU_DEP_1)
	v_cvt_f64_f32_e32 v[8:9], v5
	v_mul_f64 v[8:9], v[8:9], s[10:11]
	s_delay_alu instid0(VALU_DEP_1) | instskip(SKIP_1) | instid1(VALU_DEP_2)
	v_and_or_b32 v5, 0x1ff, v9, v8
	v_lshrrev_b32_e32 v8, 8, v9
	v_cmp_ne_u32_e32 vcc_lo, 0, v5
	v_cndmask_b32_e64 v5, 0, 1, vcc_lo
	s_delay_alu instid0(VALU_DEP_1) | instskip(SKIP_1) | instid1(VALU_DEP_2)
	v_and_or_b32 v5, 0xffe, v8, v5
	v_bfe_u32 v8, v9, 20, 11
	v_or_b32_e32 v18, 0x1000, v5
	s_delay_alu instid0(VALU_DEP_2) | instskip(SKIP_2) | instid1(VALU_DEP_3)
	v_sub_nc_u32_e32 v16, 0x3f1, v8
	v_add_nc_u32_e32 v8, 0xfffffc10, v8
	v_cmp_ne_u32_e64 s2, 0, v5
	v_med3_i32 v16, v16, 0, 13
	s_delay_alu instid0(VALU_DEP_1) | instskip(NEXT) | instid1(VALU_DEP_1)
	v_lshrrev_b32_e32 v19, v16, v18
	v_lshlrev_b32_e32 v16, v16, v19
	s_delay_alu instid0(VALU_DEP_1) | instskip(SKIP_3) | instid1(VALU_DEP_2)
	v_cmp_ne_u32_e32 vcc_lo, v16, v18
	v_lshl_or_b32 v18, v8, 12, v5
	v_cndmask_b32_e64 v16, 0, 1, vcc_lo
	v_cmp_gt_i32_e32 vcc_lo, 1, v8
	v_or_b32_e32 v16, v19, v16
	v_lshl_or_b32 v19, v15, 12, v7
	s_delay_alu instid0(VALU_DEP_2) | instskip(SKIP_2) | instid1(VALU_DEP_2)
	v_cndmask_b32_e32 v16, v18, v16, vcc_lo
	v_cndmask_b32_e64 v18, 0, 1, s0
	v_cmp_gt_i32_e32 vcc_lo, 1, v15
	v_or_b32_e32 v18, v21, v18
	s_delay_alu instid0(VALU_DEP_1) | instskip(NEXT) | instid1(VALU_DEP_1)
	v_dual_cndmask_b32 v18, v19, v18 :: v_dual_and_b32 v19, 7, v16
	v_and_b32_e32 v5, 7, v18
	s_delay_alu instid0(VALU_DEP_2) | instskip(SKIP_1) | instid1(VALU_DEP_3)
	v_cmp_lt_i32_e32 vcc_lo, 5, v19
	v_cmp_eq_u32_e64 s0, 3, v19
	v_cmp_lt_i32_e64 s3, 5, v5
	v_cmp_eq_u32_e64 s4, 3, v5
	v_lshrrev_b32_e32 v5, 2, v16
	s_delay_alu instid0(VALU_DEP_4) | instskip(SKIP_1) | instid1(VALU_DEP_3)
	s_or_b32 vcc_lo, s0, vcc_lo
	v_cndmask_b32_e64 v16, 0, 1, s2
	s_or_b32 s0, s4, s3
	s_delay_alu instid0(VALU_DEP_2) | instskip(SKIP_1) | instid1(VALU_DEP_3)
	v_add_co_ci_u32_e32 v5, vcc_lo, 0, v5, vcc_lo
	v_cmp_gt_i32_e32 vcc_lo, 31, v8
	v_lshl_or_b32 v16, v16, 9, 0x7c00
	s_delay_alu instid0(VALU_DEP_3) | instskip(SKIP_2) | instid1(VALU_DEP_3)
	v_cndmask_b32_e32 v5, 0x7c00, v5, vcc_lo
	v_cmp_eq_u32_e32 vcc_lo, 0x40f, v8
	v_lshrrev_b32_e32 v8, 2, v18
	v_cndmask_b32_e32 v5, v5, v16, vcc_lo
	v_cmp_ne_u32_e32 vcc_lo, 0, v7
	s_delay_alu instid0(VALU_DEP_3) | instskip(SKIP_4) | instid1(VALU_DEP_4)
	v_add_co_ci_u32_e64 v8, s0, 0, v8, s0
	v_lshrrev_b32_e32 v7, 16, v9
	v_cmp_gt_i32_e64 s0, 31, v15
	v_cndmask_b32_e64 v9, 0, 1, vcc_lo
	v_cmp_eq_u32_e32 vcc_lo, 0x40f, v15
	v_and_or_b32 v5, 0x8000, v7, v5
	s_delay_alu instid0(VALU_DEP_4) | instskip(NEXT) | instid1(VALU_DEP_4)
	v_cndmask_b32_e64 v8, 0x7c00, v8, s0
	v_lshl_or_b32 v9, v9, 9, 0x7c00
	s_delay_alu instid0(VALU_DEP_3) | instskip(NEXT) | instid1(VALU_DEP_2)
	v_and_b32_e32 v5, 0xffff, v5
	v_cndmask_b32_e32 v8, v8, v9, vcc_lo
	v_lshrrev_b32_e32 v9, 16, v14
	v_add_co_u32 v18, vcc_lo, v11, s13
	v_add_co_ci_u32_e32 v19, vcc_lo, s12, v12, vcc_lo
	s_delay_alu instid0(VALU_DEP_3) | instskip(NEXT) | instid1(VALU_DEP_1)
	v_and_or_b32 v7, 0x8000, v9, v8
	v_lshl_or_b32 v5, v7, 16, v5
	global_store_b32 v[11:12], v5, off
	ds_load_2addr_b32 v[11:12], v207 offset0:152 offset1:201
	s_waitcnt lgkmcnt(0)
	v_lshrrev_b32_e32 v21, 16, v11
	v_mul_f16_e32 v5, v33, v11
	s_delay_alu instid0(VALU_DEP_1) | instskip(NEXT) | instid1(VALU_DEP_1)
	v_fma_f16 v5, v30, v21, -v5
	v_cvt_f32_f16_e32 v5, v5
	s_delay_alu instid0(VALU_DEP_1) | instskip(NEXT) | instid1(VALU_DEP_1)
	v_cvt_f64_f32_e32 v[7:8], v5
	v_mul_f64 v[15:16], v[7:8], s[10:11]
	s_delay_alu instid0(VALU_DEP_1) | instskip(SKIP_3) | instid1(VALU_DEP_4)
	v_and_or_b32 v5, 0x1ff, v16, v15
	v_lshrrev_b32_e32 v7, 8, v16
	v_bfe_u32 v25, v16, 20, 11
	v_lshrrev_b32_e32 v16, 16, v16
	v_cmp_ne_u32_e32 vcc_lo, 0, v5
	v_cndmask_b32_e64 v5, 0, 1, vcc_lo
	s_delay_alu instid0(VALU_DEP_1) | instskip(SKIP_1) | instid1(VALU_DEP_2)
	v_and_or_b32 v24, 0xffe, v7, v5
	v_sub_nc_u32_e32 v5, 0x3f1, v25
	v_or_b32_e32 v7, 0x1000, v24
	s_delay_alu instid0(VALU_DEP_2) | instskip(NEXT) | instid1(VALU_DEP_1)
	v_med3_i32 v5, v5, 0, 13
	v_lshrrev_b32_e32 v26, v5, v7
	s_delay_alu instid0(VALU_DEP_1) | instskip(NEXT) | instid1(VALU_DEP_1)
	v_lshlrev_b32_e32 v5, v5, v26
	v_cmp_ne_u32_e64 s0, v5, v7
	v_cvt_f64_f32_e32 v[7:8], v3
	s_delay_alu instid0(VALU_DEP_1) | instskip(NEXT) | instid1(VALU_DEP_1)
	v_mul_f64 v[8:9], v[7:8], s[10:11]
	v_and_or_b32 v3, 0x1ff, v9, v8
	scratch_load_b32 v8, off, off offset:180 ; 4-byte Folded Reload
	v_lshrrev_b32_e32 v5, 8, v9
	v_bfe_u32 v14, v9, 20, 11
	v_lshrrev_b32_e32 v9, 16, v9
	v_cmp_ne_u32_e32 vcc_lo, 0, v3
	v_cndmask_b32_e64 v3, 0, 1, vcc_lo
	s_delay_alu instid0(VALU_DEP_1) | instskip(SKIP_1) | instid1(VALU_DEP_2)
	v_and_or_b32 v5, 0xffe, v5, v3
	v_sub_nc_u32_e32 v3, 0x3f1, v14
	v_or_b32_e32 v7, 0x1000, v5
	s_delay_alu instid0(VALU_DEP_2) | instskip(NEXT) | instid1(VALU_DEP_1)
	v_med3_i32 v3, v3, 0, 13
	v_lshrrev_b32_e32 v15, v3, v7
	s_delay_alu instid0(VALU_DEP_1) | instskip(NEXT) | instid1(VALU_DEP_1)
	v_lshlrev_b32_e32 v3, v3, v15
	v_cmp_ne_u32_e32 vcc_lo, v3, v7
	v_lshrrev_b32_e32 v7, 16, v10
	s_waitcnt vmcnt(0)
	s_delay_alu instid0(VALU_DEP_1) | instskip(SKIP_1) | instid1(VALU_DEP_2)
	v_mul_f16_e32 v3, v8, v7
	v_mul_f16_e32 v8, v8, v10
	v_fmac_f16_e32 v3, v27, v10
	s_delay_alu instid0(VALU_DEP_2) | instskip(SKIP_1) | instid1(VALU_DEP_3)
	v_fma_f16 v27, v27, v7, -v8
	v_cvt_f64_f32_e32 v[7:8], v1
	v_cvt_f32_f16_e32 v3, v3
	s_delay_alu instid0(VALU_DEP_2) | instskip(NEXT) | instid1(VALU_DEP_1)
	v_mul_f64 v[7:8], v[7:8], s[10:11]
	v_and_or_b32 v1, 0x1ff, v8, v7
	v_lshrrev_b32_e32 v7, 8, v8
	s_delay_alu instid0(VALU_DEP_2) | instskip(NEXT) | instid1(VALU_DEP_1)
	v_cmp_ne_u32_e64 s2, 0, v1
	v_cndmask_b32_e64 v1, 0, 1, s2
	s_delay_alu instid0(VALU_DEP_1) | instskip(SKIP_2) | instid1(VALU_DEP_3)
	v_and_or_b32 v1, 0xffe, v7, v1
	v_bfe_u32 v7, v8, 20, 11
	v_lshrrev_b32_e32 v8, 16, v8
	v_or_b32_e32 v28, 0x1000, v1
	s_delay_alu instid0(VALU_DEP_3) | instskip(SKIP_1) | instid1(VALU_DEP_2)
	v_sub_nc_u32_e32 v10, 0x3f1, v7
	v_add_nc_u32_e32 v7, 0xfffffc10, v7
	v_med3_i32 v10, v10, 0, 13
	s_delay_alu instid0(VALU_DEP_1) | instskip(NEXT) | instid1(VALU_DEP_1)
	v_lshrrev_b32_e32 v29, v10, v28
	v_lshlrev_b32_e32 v10, v10, v29
	s_delay_alu instid0(VALU_DEP_1) | instskip(SKIP_1) | instid1(VALU_DEP_2)
	v_cmp_ne_u32_e64 s2, v10, v28
	v_lshl_or_b32 v28, v7, 12, v1
	v_cndmask_b32_e64 v10, 0, 1, s2
	v_cmp_gt_i32_e64 s2, 1, v7
	s_delay_alu instid0(VALU_DEP_2) | instskip(NEXT) | instid1(VALU_DEP_1)
	v_or_b32_e32 v10, v29, v10
	v_cndmask_b32_e64 v10, v28, v10, s2
	s_delay_alu instid0(VALU_DEP_1) | instskip(SKIP_1) | instid1(VALU_DEP_2)
	v_and_b32_e32 v28, 7, v10
	v_lshrrev_b32_e32 v10, 2, v10
	v_cmp_lt_i32_e64 s2, 5, v28
	v_cmp_eq_u32_e64 s3, 3, v28
	v_cndmask_b32_e64 v28, 0, 1, s1
	v_cmp_ne_u32_e64 s1, 0, v1
	v_add_nc_u32_e32 v1, 0xfffffc10, v22
	s_delay_alu instid0(VALU_DEP_4) | instskip(NEXT) | instid1(VALU_DEP_3)
	s_or_b32 s2, s3, s2
	v_or_b32_e32 v23, v23, v28
	v_add_co_ci_u32_e64 v10, s2, 0, v10, s2
	s_delay_alu instid0(VALU_DEP_3) | instskip(SKIP_3) | instid1(VALU_DEP_3)
	v_lshl_or_b32 v22, v1, 12, v20
	v_cmp_gt_i32_e64 s4, 1, v1
	v_cmp_gt_i32_e64 s2, 31, v7
	v_cmp_ne_u32_e64 s3, 0, v20
	v_cndmask_b32_e64 v22, v22, v23, s4
	v_cndmask_b32_e64 v23, 0, 1, s1
	s_delay_alu instid0(VALU_DEP_4) | instskip(SKIP_2) | instid1(VALU_DEP_4)
	v_cndmask_b32_e64 v10, 0x7c00, v10, s2
	v_cmp_eq_u32_e64 s1, 0x40f, v7
	v_cndmask_b32_e64 v20, 0, 1, s3
	v_lshl_or_b32 v23, v23, 9, 0x7c00
	s_delay_alu instid0(VALU_DEP_2) | instskip(NEXT) | instid1(VALU_DEP_2)
	v_lshl_or_b32 v20, v20, 9, 0x7c00
	v_cndmask_b32_e64 v7, v10, v23, s1
	v_and_b32_e32 v10, 7, v22
	s_delay_alu instid0(VALU_DEP_2) | instskip(NEXT) | instid1(VALU_DEP_2)
	v_and_or_b32 v7, 0x8000, v8, v7
	v_cmp_lt_i32_e64 s1, 5, v10
	v_cmp_eq_u32_e64 s2, 3, v10
	v_lshrrev_b32_e32 v10, 2, v22
	s_delay_alu instid0(VALU_DEP_4) | instskip(NEXT) | instid1(VALU_DEP_3)
	v_and_b32_e32 v7, 0xffff, v7
	s_or_b32 s1, s2, s1
	s_delay_alu instid0(VALU_DEP_2) | instid1(SALU_CYCLE_1)
	v_add_co_ci_u32_e64 v10, s1, 0, v10, s1
	v_cmp_gt_i32_e64 s1, 31, v1
	s_delay_alu instid0(VALU_DEP_1) | instskip(SKIP_1) | instid1(VALU_DEP_1)
	v_cndmask_b32_e64 v10, 0x7c00, v10, s1
	v_cmp_eq_u32_e64 s1, 0x40f, v1
	v_cndmask_b32_e64 v1, v10, v20, s1
	v_lshrrev_b32_e32 v10, 16, v17
	v_add_co_u32 v17, s1, v18, s13
	s_delay_alu instid0(VALU_DEP_2) | instskip(NEXT) | instid1(VALU_DEP_1)
	v_and_or_b32 v1, 0x8000, v10, v1
	v_lshl_or_b32 v1, v1, 16, v7
	ds_load_2addr_b32 v[7:8], v176 offset0:70 offset1:119
	global_store_b32 v[18:19], v1, off
	v_add_co_ci_u32_e64 v18, s1, s12, v19, s1
	s_waitcnt lgkmcnt(0)
	v_lshrrev_b32_e32 v1, 16, v7
	v_mul_f16_e32 v10, v32, v7
	s_delay_alu instid0(VALU_DEP_1)
	v_fma_f16 v10, v31, v1, -v10
	v_mul_f16_e32 v1, v32, v1
	scratch_load_b32 v32, off, off offset:152 ; 4-byte Folded Reload
	v_cvt_f32_f16_e32 v10, v10
	v_fmac_f16_e32 v1, v31, v7
	scratch_load_b32 v31, off, off offset:144 ; 4-byte Folded Reload
	v_cvt_f64_f32_e32 v[19:20], v10
	v_cvt_f32_f16_e32 v1, v1
	s_delay_alu instid0(VALU_DEP_2) | instskip(NEXT) | instid1(VALU_DEP_1)
	v_mul_f64 v[19:20], v[19:20], s[10:11]
	v_and_or_b32 v10, 0x1ff, v20, v19
	v_lshrrev_b32_e32 v19, 8, v20
	v_bfe_u32 v22, v20, 20, 11
	s_delay_alu instid0(VALU_DEP_3) | instskip(NEXT) | instid1(VALU_DEP_1)
	v_cmp_ne_u32_e64 s1, 0, v10
	v_cndmask_b32_e64 v10, 0, 1, s1
	s_delay_alu instid0(VALU_DEP_1) | instskip(NEXT) | instid1(VALU_DEP_4)
	v_and_or_b32 v19, 0xffe, v19, v10
	v_sub_nc_u32_e32 v10, 0x3f1, v22
	s_delay_alu instid0(VALU_DEP_2) | instskip(NEXT) | instid1(VALU_DEP_2)
	v_or_b32_e32 v23, 0x1000, v19
	v_med3_i32 v10, v10, 0, 13
	s_delay_alu instid0(VALU_DEP_1) | instskip(NEXT) | instid1(VALU_DEP_1)
	v_lshrrev_b32_e32 v28, v10, v23
	v_lshlrev_b32_e32 v10, v10, v28
	s_delay_alu instid0(VALU_DEP_1) | instskip(SKIP_3) | instid1(VALU_DEP_1)
	v_cmp_ne_u32_e64 s1, v10, v23
	v_mul_f16_e32 v10, v33, v21
	scratch_load_b32 v33, off, off offset:156 ; 4-byte Folded Reload
	v_fmac_f16_e32 v10, v30, v11
	v_cvt_f32_f16_e32 v10, v10
	s_delay_alu instid0(VALU_DEP_1) | instskip(NEXT) | instid1(VALU_DEP_1)
	v_cvt_f64_f32_e32 v[10:11], v10
	v_mul_f64 v[10:11], v[10:11], s[10:11]
	s_delay_alu instid0(VALU_DEP_1) | instskip(SKIP_1) | instid1(VALU_DEP_2)
	v_and_or_b32 v10, 0x1ff, v11, v10
	v_lshrrev_b32_e32 v21, 8, v11
	v_cmp_ne_u32_e64 s2, 0, v10
	s_delay_alu instid0(VALU_DEP_1) | instskip(NEXT) | instid1(VALU_DEP_1)
	v_cndmask_b32_e64 v10, 0, 1, s2
	v_and_or_b32 v10, 0xffe, v21, v10
	v_bfe_u32 v21, v11, 20, 11
	v_lshrrev_b32_e32 v11, 16, v11
	s_delay_alu instid0(VALU_DEP_3) | instskip(NEXT) | instid1(VALU_DEP_3)
	v_or_b32_e32 v29, 0x1000, v10
	v_sub_nc_u32_e32 v23, 0x3f1, v21
	v_add_nc_u32_e32 v21, 0xfffffc10, v21
	s_delay_alu instid0(VALU_DEP_2) | instskip(NEXT) | instid1(VALU_DEP_1)
	v_med3_i32 v23, v23, 0, 13
	v_lshrrev_b32_e32 v30, v23, v29
	s_delay_alu instid0(VALU_DEP_1) | instskip(NEXT) | instid1(VALU_DEP_1)
	v_lshlrev_b32_e32 v23, v23, v30
	v_cmp_ne_u32_e64 s2, v23, v29
	v_lshl_or_b32 v29, v21, 12, v10
	s_delay_alu instid0(VALU_DEP_2) | instskip(SKIP_1) | instid1(VALU_DEP_2)
	v_cndmask_b32_e64 v23, 0, 1, s2
	v_cmp_gt_i32_e64 s2, 1, v21
	v_or_b32_e32 v23, v30, v23
	s_delay_alu instid0(VALU_DEP_1) | instskip(NEXT) | instid1(VALU_DEP_1)
	v_cndmask_b32_e64 v23, v29, v23, s2
	v_and_b32_e32 v29, 7, v23
	v_lshrrev_b32_e32 v23, 2, v23
	s_delay_alu instid0(VALU_DEP_2) | instskip(SKIP_4) | instid1(VALU_DEP_4)
	v_cmp_lt_i32_e64 s2, 5, v29
	v_cmp_eq_u32_e64 s3, 3, v29
	v_cndmask_b32_e64 v29, 0, 1, s0
	v_cmp_ne_u32_e64 s0, 0, v10
	v_add_nc_u32_e32 v10, 0xfffffc10, v25
	s_or_b32 s2, s3, s2
	s_delay_alu instid0(VALU_DEP_3) | instskip(SKIP_1) | instid1(VALU_DEP_3)
	v_or_b32_e32 v26, v26, v29
	v_add_co_ci_u32_e64 v23, s2, 0, v23, s2
	v_lshl_or_b32 v25, v10, 12, v24
	v_cmp_gt_i32_e64 s4, 1, v10
	v_cmp_gt_i32_e64 s2, 31, v21
	v_cmp_ne_u32_e64 s3, 0, v24
	s_delay_alu instid0(VALU_DEP_3) | instskip(SKIP_1) | instid1(VALU_DEP_4)
	v_cndmask_b32_e64 v25, v25, v26, s4
	v_cndmask_b32_e64 v26, 0, 1, s0
	;; [unrolled: 1-line block ×3, first 2 shown]
	v_cmp_eq_u32_e64 s0, 0x40f, v21
	v_cndmask_b32_e64 v24, 0, 1, s3
	s_delay_alu instid0(VALU_DEP_4) | instskip(NEXT) | instid1(VALU_DEP_2)
	v_lshl_or_b32 v26, v26, 9, 0x7c00
	v_lshl_or_b32 v24, v24, 9, 0x7c00
	s_delay_alu instid0(VALU_DEP_2) | instskip(SKIP_1) | instid1(VALU_DEP_2)
	v_cndmask_b32_e64 v21, v23, v26, s0
	v_and_b32_e32 v23, 7, v25
	v_and_or_b32 v11, 0x8000, v11, v21
	s_delay_alu instid0(VALU_DEP_2) | instskip(SKIP_2) | instid1(VALU_DEP_4)
	v_cmp_lt_i32_e64 s0, 5, v23
	v_cmp_eq_u32_e64 s2, 3, v23
	v_lshrrev_b32_e32 v23, 2, v25
	v_and_b32_e32 v11, 0xffff, v11
	s_delay_alu instid0(VALU_DEP_3)
	s_or_b32 s0, s2, s0
	s_delay_alu instid0(VALU_DEP_2) | instid1(SALU_CYCLE_1)
	v_add_co_ci_u32_e64 v23, s0, 0, v23, s0
	v_cmp_gt_i32_e64 s0, 31, v10
	s_delay_alu instid0(VALU_DEP_1) | instskip(SKIP_1) | instid1(VALU_DEP_1)
	v_cndmask_b32_e64 v23, 0x7c00, v23, s0
	v_cmp_eq_u32_e64 s0, 0x40f, v10
	v_cndmask_b32_e64 v10, v23, v24, s0
	s_delay_alu instid0(VALU_DEP_1) | instskip(NEXT) | instid1(VALU_DEP_1)
	v_and_or_b32 v10, 0x8000, v16, v10
	v_lshl_or_b32 v10, v10, 16, v11
	global_store_b32 v[17:18], v10, off
	v_add_co_u32 v10, s0, v17, s13
	v_cvt_f64_f32_e32 v[16:17], v13
	v_add_co_ci_u32_e64 v11, s0, s12, v18, s0
	s_delay_alu instid0(VALU_DEP_2) | instskip(NEXT) | instid1(VALU_DEP_1)
	v_mul_f64 v[16:17], v[16:17], s[10:11]
	v_and_or_b32 v13, 0x1ff, v17, v16
	v_lshrrev_b32_e32 v16, 8, v17
	s_delay_alu instid0(VALU_DEP_2) | instskip(NEXT) | instid1(VALU_DEP_1)
	v_cmp_ne_u32_e64 s0, 0, v13
	v_cndmask_b32_e64 v13, 0, 1, s0
	s_delay_alu instid0(VALU_DEP_1) | instskip(SKIP_1) | instid1(VALU_DEP_2)
	v_and_or_b32 v13, 0xffe, v16, v13
	v_bfe_u32 v16, v17, 20, 11
	v_or_b32_e32 v21, 0x1000, v13
	s_delay_alu instid0(VALU_DEP_2) | instskip(SKIP_1) | instid1(VALU_DEP_2)
	v_sub_nc_u32_e32 v18, 0x3f1, v16
	v_add_nc_u32_e32 v16, 0xfffffc10, v16
	v_med3_i32 v18, v18, 0, 13
	s_delay_alu instid0(VALU_DEP_1) | instskip(NEXT) | instid1(VALU_DEP_1)
	v_lshrrev_b32_e32 v23, v18, v21
	v_lshlrev_b32_e32 v18, v18, v23
	s_delay_alu instid0(VALU_DEP_1) | instskip(SKIP_1) | instid1(VALU_DEP_2)
	v_cmp_ne_u32_e64 s0, v18, v21
	v_lshl_or_b32 v21, v16, 12, v13
	v_cndmask_b32_e64 v18, 0, 1, s0
	v_cmp_gt_i32_e64 s0, 1, v16
	s_delay_alu instid0(VALU_DEP_2) | instskip(NEXT) | instid1(VALU_DEP_1)
	v_or_b32_e32 v18, v23, v18
	v_cndmask_b32_e64 v18, v21, v18, s0
	s_delay_alu instid0(VALU_DEP_1) | instskip(NEXT) | instid1(VALU_DEP_1)
	v_and_b32_e32 v21, 7, v18
	v_cmp_lt_i32_e64 s0, 5, v21
	v_cmp_eq_u32_e64 s2, 3, v21
	v_cndmask_b32_e64 v21, 0, 1, vcc_lo
	v_cmp_ne_u32_e32 vcc_lo, 0, v13
	v_add_nc_u32_e32 v13, 0xfffffc10, v14
	s_delay_alu instid0(VALU_DEP_4) | instskip(NEXT) | instid1(VALU_DEP_3)
	s_or_b32 s0, s2, s0
	v_or_b32_e32 v15, v15, v21
	v_cmp_ne_u32_e64 s2, 0, v5
	s_delay_alu instid0(VALU_DEP_3)
	v_lshl_or_b32 v14, v13, 12, v5
	v_cmp_gt_i32_e64 s3, 1, v13
	v_lshrrev_b32_e32 v5, 16, v17
	scratch_load_b32 v17, off, off offset:164 ; 4-byte Folded Reload
	v_cndmask_b32_e64 v14, v14, v15, s3
	v_lshrrev_b32_e32 v15, 2, v18
	v_cndmask_b32_e64 v18, 0, 1, vcc_lo
	v_cmp_eq_u32_e32 vcc_lo, 0x40f, v16
	s_delay_alu instid0(VALU_DEP_3) | instskip(SKIP_1) | instid1(VALU_DEP_4)
	v_add_co_ci_u32_e64 v15, s0, 0, v15, s0
	v_cmp_gt_i32_e64 s0, 31, v16
	v_lshl_or_b32 v18, v18, 9, 0x7c00
	v_and_b32_e32 v16, 7, v14
	v_lshrrev_b32_e32 v14, 2, v14
	s_delay_alu instid0(VALU_DEP_4) | instskip(NEXT) | instid1(VALU_DEP_3)
	v_cndmask_b32_e64 v15, 0x7c00, v15, s0
	v_cmp_eq_u32_e64 s0, 3, v16
	s_delay_alu instid0(VALU_DEP_2)
	v_cndmask_b32_e32 v15, v15, v18, vcc_lo
	scratch_load_b32 v18, off, off offset:160 ; 4-byte Folded Reload
	v_cmp_lt_i32_e32 vcc_lo, 5, v16
	v_cndmask_b32_e64 v16, 0, 1, s2
	v_and_or_b32 v5, 0x8000, v5, v15
	s_or_b32 vcc_lo, s0, vcc_lo
	s_delay_alu instid0(VALU_DEP_2) | instskip(SKIP_3) | instid1(VALU_DEP_3)
	v_lshl_or_b32 v16, v16, 9, 0x7c00
	v_add_co_ci_u32_e32 v14, vcc_lo, 0, v14, vcc_lo
	v_cmp_gt_i32_e32 vcc_lo, 31, v13
	v_and_b32_e32 v5, 0xffff, v5
	v_cndmask_b32_e32 v14, 0x7c00, v14, vcc_lo
	v_cmp_eq_u32_e32 vcc_lo, 0x40f, v13
	s_delay_alu instid0(VALU_DEP_2) | instskip(SKIP_2) | instid1(VALU_DEP_3)
	v_cndmask_b32_e32 v13, v14, v16, vcc_lo
	v_add_co_u32 v15, vcc_lo, v10, s13
	v_add_co_ci_u32_e32 v16, vcc_lo, s12, v11, vcc_lo
	v_and_or_b32 v9, 0x8000, v9, v13
	s_delay_alu instid0(VALU_DEP_1) | instskip(SKIP_3) | instid1(VALU_DEP_2)
	v_lshl_or_b32 v5, v9, 16, v5
	global_store_b32 v[10:11], v5, off
	v_cvt_f32_f16_e32 v5, v27
	v_lshrrev_b32_e32 v27, 16, v12
	v_cvt_f64_f32_e32 v[9:10], v5
	s_delay_alu instid0(VALU_DEP_1) | instskip(NEXT) | instid1(VALU_DEP_1)
	v_mul_f64 v[9:10], v[9:10], s[10:11]
	v_and_or_b32 v5, 0x1ff, v10, v9
	v_lshrrev_b32_e32 v9, 8, v10
	v_bfe_u32 v13, v10, 20, 11
	v_lshrrev_b32_e32 v10, 16, v10
	s_delay_alu instid0(VALU_DEP_4) | instskip(SKIP_1) | instid1(VALU_DEP_1)
	v_cmp_ne_u32_e32 vcc_lo, 0, v5
	v_cndmask_b32_e64 v5, 0, 1, vcc_lo
	v_and_or_b32 v11, 0xffe, v9, v5
	v_sub_nc_u32_e32 v5, 0x3f1, v13
	s_delay_alu instid0(VALU_DEP_2) | instskip(NEXT) | instid1(VALU_DEP_2)
	v_or_b32_e32 v9, 0x1000, v11
	v_med3_i32 v5, v5, 0, 13
	s_delay_alu instid0(VALU_DEP_1) | instskip(NEXT) | instid1(VALU_DEP_1)
	v_lshrrev_b32_e32 v14, v5, v9
	v_lshlrev_b32_e32 v5, v5, v14
	s_delay_alu instid0(VALU_DEP_1) | instskip(SKIP_2) | instid1(VALU_DEP_1)
	v_cmp_ne_u32_e32 vcc_lo, v5, v9
	v_lshrrev_b32_e32 v5, 16, v6
	s_waitcnt vmcnt(1)
	v_mul_f16_e32 v9, v17, v5
	v_mul_f16_e32 v17, v17, v6
	s_waitcnt vmcnt(0)
	s_delay_alu instid0(VALU_DEP_2) | instskip(NEXT) | instid1(VALU_DEP_2)
	v_fmac_f16_e32 v9, v18, v6
	v_fma_f16 v17, v18, v5, -v17
	v_cvt_f64_f32_e32 v[5:6], v1
	s_delay_alu instid0(VALU_DEP_3) | instskip(NEXT) | instid1(VALU_DEP_2)
	v_cvt_f32_f16_e32 v9, v9
	v_mul_f64 v[5:6], v[5:6], s[10:11]
	s_delay_alu instid0(VALU_DEP_1) | instskip(SKIP_1) | instid1(VALU_DEP_2)
	v_and_or_b32 v1, 0x1ff, v6, v5
	v_lshrrev_b32_e32 v5, 8, v6
	v_cmp_ne_u32_e64 s0, 0, v1
	s_delay_alu instid0(VALU_DEP_1) | instskip(NEXT) | instid1(VALU_DEP_1)
	v_cndmask_b32_e64 v1, 0, 1, s0
	v_and_or_b32 v1, 0xffe, v5, v1
	v_bfe_u32 v5, v6, 20, 11
	v_lshrrev_b32_e32 v6, 16, v6
	s_delay_alu instid0(VALU_DEP_3) | instskip(NEXT) | instid1(VALU_DEP_3)
	v_or_b32_e32 v18, 0x1000, v1
	v_sub_nc_u32_e32 v7, 0x3f1, v5
	v_add_nc_u32_e32 v5, 0xfffffc10, v5
	s_delay_alu instid0(VALU_DEP_2) | instskip(NEXT) | instid1(VALU_DEP_1)
	v_med3_i32 v7, v7, 0, 13
	v_lshrrev_b32_e32 v21, v7, v18
	s_delay_alu instid0(VALU_DEP_1) | instskip(NEXT) | instid1(VALU_DEP_1)
	v_lshlrev_b32_e32 v7, v7, v21
	v_cmp_ne_u32_e64 s0, v7, v18
	v_lshl_or_b32 v18, v5, 12, v1
	s_delay_alu instid0(VALU_DEP_2) | instskip(SKIP_1) | instid1(VALU_DEP_2)
	v_cndmask_b32_e64 v7, 0, 1, s0
	v_cmp_gt_i32_e64 s0, 1, v5
	v_or_b32_e32 v7, v21, v7
	s_delay_alu instid0(VALU_DEP_1) | instskip(NEXT) | instid1(VALU_DEP_1)
	v_cndmask_b32_e64 v7, v18, v7, s0
	v_and_b32_e32 v18, 7, v7
	v_lshrrev_b32_e32 v7, 2, v7
	s_delay_alu instid0(VALU_DEP_2) | instskip(SKIP_4) | instid1(VALU_DEP_4)
	v_cmp_lt_i32_e64 s0, 5, v18
	v_cmp_eq_u32_e64 s2, 3, v18
	v_cndmask_b32_e64 v18, 0, 1, s1
	v_cmp_ne_u32_e64 s1, 0, v1
	v_add_nc_u32_e32 v1, 0xfffffc10, v22
	s_or_b32 s0, s2, s0
	s_delay_alu instid0(VALU_DEP_3) | instskip(SKIP_1) | instid1(VALU_DEP_3)
	v_or_b32_e32 v18, v28, v18
	v_add_co_ci_u32_e64 v7, s0, 0, v7, s0
	v_lshl_or_b32 v21, v1, 12, v19
	v_cmp_gt_i32_e64 s3, 1, v1
	v_cmp_gt_i32_e64 s0, 31, v5
	v_cmp_ne_u32_e64 s2, 0, v19
	s_delay_alu instid0(VALU_DEP_3) | instskip(SKIP_1) | instid1(VALU_DEP_4)
	v_cndmask_b32_e64 v18, v21, v18, s3
	v_cndmask_b32_e64 v21, 0, 1, s1
	;; [unrolled: 1-line block ×3, first 2 shown]
	v_cmp_eq_u32_e64 s0, 0x40f, v5
	s_delay_alu instid0(VALU_DEP_3) | instskip(NEXT) | instid1(VALU_DEP_1)
	v_lshl_or_b32 v21, v21, 9, 0x7c00
	v_cndmask_b32_e64 v5, v7, v21, s0
	v_and_b32_e32 v7, 7, v18
	s_delay_alu instid0(VALU_DEP_2) | instskip(NEXT) | instid1(VALU_DEP_2)
	v_and_or_b32 v5, 0x8000, v6, v5
	v_cmp_lt_i32_e64 s0, 5, v7
	v_cmp_eq_u32_e64 s1, 3, v7
	v_lshrrev_b32_e32 v7, 2, v18
	v_cndmask_b32_e64 v18, 0, 1, s2
	v_and_b32_e32 v5, 0xffff, v5
	s_delay_alu instid0(VALU_DEP_4)
	s_or_b32 s0, s1, s0
	s_delay_alu instid0(VALU_DEP_3) | instid1(SALU_CYCLE_1)
	v_add_co_ci_u32_e64 v7, s0, 0, v7, s0
	v_cmp_gt_i32_e64 s0, 31, v1
	v_lshl_or_b32 v18, v18, 9, 0x7c00
	s_delay_alu instid0(VALU_DEP_2) | instskip(SKIP_1) | instid1(VALU_DEP_1)
	v_cndmask_b32_e64 v7, 0x7c00, v7, s0
	v_cmp_eq_u32_e64 s0, 0x40f, v1
	v_cndmask_b32_e64 v1, v7, v18, s0
	v_lshrrev_b32_e32 v7, 16, v20
	v_add_co_u32 v18, s0, v15, s13
	s_delay_alu instid0(VALU_DEP_1) | instskip(NEXT) | instid1(VALU_DEP_3)
	v_add_co_ci_u32_e64 v19, s0, s12, v16, s0
	v_and_or_b32 v1, 0x8000, v7, v1
	s_delay_alu instid0(VALU_DEP_1)
	v_lshl_or_b32 v1, v1, 16, v5
	ds_load_2addr_b32 v[5:6], v251 offset0:196 offset1:245
	global_store_b32 v[15:16], v1, off
	s_waitcnt lgkmcnt(0)
	v_lshrrev_b32_e32 v24, 16, v5
	v_mul_f16_e32 v1, v33, v5
	s_delay_alu instid0(VALU_DEP_1) | instskip(NEXT) | instid1(VALU_DEP_1)
	v_fma_f16 v1, v32, v24, -v1
	v_cvt_f32_f16_e32 v1, v1
	s_delay_alu instid0(VALU_DEP_1) | instskip(NEXT) | instid1(VALU_DEP_1)
	v_cvt_f64_f32_e32 v[15:16], v1
	v_mul_f64 v[20:21], v[15:16], s[10:11]
	s_delay_alu instid0(VALU_DEP_1) | instskip(SKIP_2) | instid1(VALU_DEP_3)
	v_and_or_b32 v1, 0x1ff, v21, v20
	v_lshrrev_b32_e32 v7, 8, v21
	v_bfe_u32 v25, v21, 20, 11
	v_cmp_ne_u32_e64 s0, 0, v1
	s_delay_alu instid0(VALU_DEP_1) | instskip(NEXT) | instid1(VALU_DEP_1)
	v_cndmask_b32_e64 v1, 0, 1, s0
	v_and_or_b32 v20, 0xffe, v7, v1
	s_delay_alu instid0(VALU_DEP_4) | instskip(NEXT) | instid1(VALU_DEP_2)
	v_sub_nc_u32_e32 v1, 0x3f1, v25
	v_or_b32_e32 v7, 0x1000, v20
	s_delay_alu instid0(VALU_DEP_2) | instskip(NEXT) | instid1(VALU_DEP_1)
	v_med3_i32 v1, v1, 0, 13
	v_lshrrev_b32_e32 v26, v1, v7
	s_delay_alu instid0(VALU_DEP_1) | instskip(NEXT) | instid1(VALU_DEP_1)
	v_lshlrev_b32_e32 v1, v1, v26
	v_cmp_ne_u32_e64 s1, v1, v7
	v_cvt_f32_f16_e32 v1, v17
	s_delay_alu instid0(VALU_DEP_1) | instskip(NEXT) | instid1(VALU_DEP_1)
	v_cvt_f64_f32_e32 v[15:16], v1
	v_mul_f64 v[15:16], v[15:16], s[10:11]
	s_delay_alu instid0(VALU_DEP_1) | instskip(SKIP_2) | instid1(VALU_DEP_3)
	v_and_or_b32 v1, 0x1ff, v16, v15
	v_lshrrev_b32_e32 v7, 8, v16
	v_bfe_u32 v15, v16, 20, 11
	v_cmp_ne_u32_e64 s0, 0, v1
	s_delay_alu instid0(VALU_DEP_1) | instskip(NEXT) | instid1(VALU_DEP_1)
	v_cndmask_b32_e64 v1, 0, 1, s0
	v_and_or_b32 v7, 0xffe, v7, v1
	s_delay_alu instid0(VALU_DEP_4) | instskip(NEXT) | instid1(VALU_DEP_2)
	v_sub_nc_u32_e32 v1, 0x3f1, v15
	v_or_b32_e32 v22, 0x1000, v7
	s_delay_alu instid0(VALU_DEP_2) | instskip(NEXT) | instid1(VALU_DEP_1)
	v_med3_i32 v1, v1, 0, 13
	v_lshrrev_b32_e32 v17, v1, v22
	s_delay_alu instid0(VALU_DEP_1) | instskip(NEXT) | instid1(VALU_DEP_1)
	v_lshlrev_b32_e32 v1, v1, v17
	v_cmp_ne_u32_e64 s0, v1, v22
	scratch_load_b32 v22, off, off offset:148 ; 4-byte Folded Reload
	s_waitcnt vmcnt(0)
	v_mul_f16_e32 v1, v22, v27
	v_mul_f16_e32 v28, v22, v12
	v_cvt_f64_f32_e32 v[22:23], v3
	s_delay_alu instid0(VALU_DEP_3) | instskip(NEXT) | instid1(VALU_DEP_1)
	v_fmac_f16_e32 v1, v31, v12
	v_cvt_f32_f16_e32 v1, v1
	s_delay_alu instid0(VALU_DEP_3) | instskip(NEXT) | instid1(VALU_DEP_1)
	v_mul_f64 v[22:23], v[22:23], s[10:11]
	v_and_or_b32 v3, 0x1ff, v23, v22
	v_lshrrev_b32_e32 v12, 8, v23
	s_delay_alu instid0(VALU_DEP_2) | instskip(NEXT) | instid1(VALU_DEP_1)
	v_cmp_ne_u32_e64 s2, 0, v3
	v_cndmask_b32_e64 v3, 0, 1, s2
	s_delay_alu instid0(VALU_DEP_1) | instskip(SKIP_1) | instid1(VALU_DEP_2)
	v_and_or_b32 v3, 0xffe, v12, v3
	v_bfe_u32 v12, v23, 20, 11
	v_or_b32_e32 v29, 0x1000, v3
	s_delay_alu instid0(VALU_DEP_2) | instskip(SKIP_1) | instid1(VALU_DEP_2)
	v_sub_nc_u32_e32 v22, 0x3f1, v12
	v_add_nc_u32_e32 v12, 0xfffffc10, v12
	v_med3_i32 v22, v22, 0, 13
	s_delay_alu instid0(VALU_DEP_1) | instskip(NEXT) | instid1(VALU_DEP_1)
	v_lshrrev_b32_e32 v30, v22, v29
	v_lshlrev_b32_e32 v22, v22, v30
	s_delay_alu instid0(VALU_DEP_1) | instskip(SKIP_1) | instid1(VALU_DEP_2)
	v_cmp_ne_u32_e64 s2, v22, v29
	v_lshl_or_b32 v29, v12, 12, v3
	v_cndmask_b32_e64 v22, 0, 1, s2
	v_cmp_gt_i32_e64 s2, 1, v12
	s_delay_alu instid0(VALU_DEP_2) | instskip(NEXT) | instid1(VALU_DEP_1)
	v_or_b32_e32 v22, v30, v22
	v_cndmask_b32_e64 v22, v29, v22, s2
	s_delay_alu instid0(VALU_DEP_1) | instskip(NEXT) | instid1(VALU_DEP_1)
	v_and_b32_e32 v29, 7, v22
	v_cmp_lt_i32_e64 s2, 5, v29
	v_cmp_eq_u32_e64 s3, 3, v29
	v_cndmask_b32_e64 v29, 0, 1, vcc_lo
	v_cmp_ne_u32_e32 vcc_lo, 0, v3
	v_add_nc_u32_e32 v3, 0xfffffc10, v13
	s_delay_alu instid0(VALU_DEP_4) | instskip(NEXT) | instid1(VALU_DEP_3)
	s_or_b32 s2, s3, s2
	v_or_b32_e32 v14, v14, v29
	v_cmp_ne_u32_e64 s3, 0, v11
	s_delay_alu instid0(VALU_DEP_3) | instskip(SKIP_1) | instid1(VALU_DEP_1)
	v_lshl_or_b32 v13, v3, 12, v11
	v_cmp_gt_i32_e64 s4, 1, v3
	v_cndmask_b32_e64 v13, v13, v14, s4
	v_lshrrev_b32_e32 v14, 2, v22
	v_cndmask_b32_e64 v22, 0, 1, vcc_lo
	v_cmp_eq_u32_e32 vcc_lo, 0x40f, v12
	s_delay_alu instid0(VALU_DEP_4) | instskip(NEXT) | instid1(VALU_DEP_4)
	v_lshrrev_b32_e32 v11, 2, v13
	v_add_co_ci_u32_e64 v14, s2, 0, v14, s2
	v_cmp_gt_i32_e64 s2, 31, v12
	v_lshl_or_b32 v22, v22, 9, 0x7c00
	s_delay_alu instid0(VALU_DEP_2) | instskip(NEXT) | instid1(VALU_DEP_1)
	v_cndmask_b32_e64 v14, 0x7c00, v14, s2
	v_cndmask_b32_e32 v12, v14, v22, vcc_lo
	v_and_b32_e32 v22, 7, v13
	v_cndmask_b32_e64 v13, 0, 1, s3
	v_lshrrev_b32_e32 v14, 16, v23
	s_delay_alu instid0(VALU_DEP_3) | instskip(SKIP_1) | instid1(VALU_DEP_4)
	v_cmp_lt_i32_e32 vcc_lo, 5, v22
	v_cmp_eq_u32_e64 s2, 3, v22
	v_lshl_or_b32 v13, v13, 9, 0x7c00
	s_delay_alu instid0(VALU_DEP_2) | instskip(SKIP_2) | instid1(VALU_DEP_2)
	s_or_b32 vcc_lo, s2, vcc_lo
	v_add_co_ci_u32_e32 v11, vcc_lo, 0, v11, vcc_lo
	v_cmp_gt_i32_e32 vcc_lo, 31, v3
	v_cndmask_b32_e32 v11, 0x7c00, v11, vcc_lo
	v_cmp_eq_u32_e32 vcc_lo, 0x40f, v3
	s_delay_alu instid0(VALU_DEP_2) | instskip(SKIP_1) | instid1(VALU_DEP_2)
	v_cndmask_b32_e32 v3, v11, v13, vcc_lo
	v_and_or_b32 v11, 0x8000, v14, v12
	v_and_or_b32 v3, 0x8000, v10, v3
	s_delay_alu instid0(VALU_DEP_2) | instskip(NEXT) | instid1(VALU_DEP_1)
	v_and_b32_e32 v10, 0xffff, v11
	v_lshl_or_b32 v3, v3, 16, v10
	v_add_co_u32 v10, vcc_lo, v18, s8
	v_add_co_ci_u32_e32 v11, vcc_lo, s9, v19, vcc_lo
	global_store_b32 v[18:19], v3, off
	v_mul_f16_e32 v3, v33, v24
	s_delay_alu instid0(VALU_DEP_1) | instskip(NEXT) | instid1(VALU_DEP_1)
	v_fmac_f16_e32 v3, v32, v5
	v_cvt_f32_f16_e32 v3, v3
	s_delay_alu instid0(VALU_DEP_1) | instskip(NEXT) | instid1(VALU_DEP_1)
	v_cvt_f64_f32_e32 v[12:13], v3
	v_mul_f64 v[12:13], v[12:13], s[10:11]
	s_delay_alu instid0(VALU_DEP_1) | instskip(SKIP_1) | instid1(VALU_DEP_2)
	v_and_or_b32 v3, 0x1ff, v13, v12
	v_lshrrev_b32_e32 v5, 8, v13
	v_cmp_ne_u32_e32 vcc_lo, 0, v3
	v_cndmask_b32_e64 v3, 0, 1, vcc_lo
	s_delay_alu instid0(VALU_DEP_1) | instskip(SKIP_1) | instid1(VALU_DEP_2)
	v_and_or_b32 v3, 0xffe, v5, v3
	v_bfe_u32 v5, v13, 20, 11
	v_or_b32_e32 v14, 0x1000, v3
	s_delay_alu instid0(VALU_DEP_2) | instskip(SKIP_1) | instid1(VALU_DEP_2)
	v_sub_nc_u32_e32 v12, 0x3f1, v5
	v_add_nc_u32_e32 v5, 0xfffffc10, v5
	v_med3_i32 v12, v12, 0, 13
	s_delay_alu instid0(VALU_DEP_1) | instskip(NEXT) | instid1(VALU_DEP_1)
	v_lshrrev_b32_e32 v18, v12, v14
	v_lshlrev_b32_e32 v12, v12, v18
	s_delay_alu instid0(VALU_DEP_1) | instskip(SKIP_3) | instid1(VALU_DEP_2)
	v_cmp_ne_u32_e32 vcc_lo, v12, v14
	v_lshl_or_b32 v14, v5, 12, v3
	v_cndmask_b32_e64 v12, 0, 1, vcc_lo
	v_cmp_gt_i32_e32 vcc_lo, 1, v5
	v_or_b32_e32 v12, v18, v12
	s_delay_alu instid0(VALU_DEP_1) | instskip(NEXT) | instid1(VALU_DEP_1)
	v_cndmask_b32_e32 v12, v14, v12, vcc_lo
	v_and_b32_e32 v14, 7, v12
	v_lshrrev_b32_e32 v12, 2, v12
	s_delay_alu instid0(VALU_DEP_2) | instskip(SKIP_4) | instid1(VALU_DEP_4)
	v_cmp_lt_i32_e32 vcc_lo, 5, v14
	v_cmp_eq_u32_e64 s2, 3, v14
	v_cndmask_b32_e64 v14, 0, 1, s1
	v_cmp_ne_u32_e64 s1, 0, v3
	v_add_nc_u32_e32 v3, 0xfffffc10, v25
	s_or_b32 vcc_lo, s2, vcc_lo
	s_delay_alu instid0(VALU_DEP_3) | instskip(SKIP_1) | instid1(VALU_DEP_3)
	v_or_b32_e32 v14, v26, v14
	v_add_co_ci_u32_e32 v12, vcc_lo, 0, v12, vcc_lo
	v_lshl_or_b32 v18, v3, 12, v20
	v_cmp_gt_i32_e64 s3, 1, v3
	v_cmp_gt_i32_e32 vcc_lo, 31, v5
	v_cmp_ne_u32_e64 s2, 0, v20
	s_delay_alu instid0(VALU_DEP_3) | instskip(SKIP_3) | instid1(VALU_DEP_3)
	v_cndmask_b32_e64 v14, v18, v14, s3
	v_cndmask_b32_e64 v18, 0, 1, s1
	v_cndmask_b32_e32 v12, 0x7c00, v12, vcc_lo
	v_cmp_eq_u32_e32 vcc_lo, 0x40f, v5
	v_lshl_or_b32 v18, v18, 9, 0x7c00
	s_delay_alu instid0(VALU_DEP_1) | instskip(SKIP_2) | instid1(VALU_DEP_2)
	v_cndmask_b32_e32 v5, v12, v18, vcc_lo
	v_lshrrev_b32_e32 v12, 16, v13
	v_and_b32_e32 v13, 7, v14
	v_and_or_b32 v5, 0x8000, v12, v5
	s_delay_alu instid0(VALU_DEP_2) | instskip(SKIP_4) | instid1(VALU_DEP_4)
	v_cmp_lt_i32_e32 vcc_lo, 5, v13
	v_cmp_eq_u32_e64 s1, 3, v13
	v_lshrrev_b32_e32 v13, 2, v14
	v_cndmask_b32_e64 v14, 0, 1, s2
	v_and_b32_e32 v5, 0xffff, v5
	s_or_b32 vcc_lo, s1, vcc_lo
	s_delay_alu instid0(VALU_DEP_3) | instskip(SKIP_2) | instid1(VALU_DEP_3)
	v_add_co_ci_u32_e32 v13, vcc_lo, 0, v13, vcc_lo
	v_cmp_gt_i32_e32 vcc_lo, 31, v3
	v_lshl_or_b32 v14, v14, 9, 0x7c00
	v_cndmask_b32_e32 v13, 0x7c00, v13, vcc_lo
	v_cmp_eq_u32_e32 vcc_lo, 0x40f, v3
	s_delay_alu instid0(VALU_DEP_2) | instskip(SKIP_2) | instid1(VALU_DEP_2)
	v_cndmask_b32_e32 v3, v13, v14, vcc_lo
	v_lshrrev_b32_e32 v13, 16, v21
	v_fma_f16 v14, v31, v27, -v28
	v_and_or_b32 v3, 0x8000, v13, v3
	v_cvt_f64_f32_e32 v[12:13], v9
	s_delay_alu instid0(VALU_DEP_2) | instskip(SKIP_2) | instid1(VALU_DEP_1)
	v_lshl_or_b32 v3, v3, 16, v5
	global_store_b32 v[10:11], v3, off
	v_mul_f64 v[12:13], v[12:13], s[10:11]
	v_and_or_b32 v5, 0x1ff, v13, v12
	v_bfe_u32 v12, v13, 20, 11
	v_lshrrev_b32_e32 v3, 8, v13
	s_delay_alu instid0(VALU_DEP_3) | instskip(NEXT) | instid1(VALU_DEP_3)
	v_cmp_ne_u32_e32 vcc_lo, 0, v5
	v_add_nc_u32_e32 v20, 0xfffffc10, v12
	v_cndmask_b32_e64 v5, 0, 1, vcc_lo
	v_add_co_u32 v9, vcc_lo, v10, s13
	v_add_co_ci_u32_e32 v10, vcc_lo, s12, v11, vcc_lo
	v_sub_nc_u32_e32 v11, 0x3f1, v12
	s_delay_alu instid0(VALU_DEP_4) | instskip(NEXT) | instid1(VALU_DEP_2)
	v_and_or_b32 v3, 0xffe, v3, v5
	v_med3_i32 v5, v11, 0, 13
	s_delay_alu instid0(VALU_DEP_2) | instskip(NEXT) | instid1(VALU_DEP_1)
	v_or_b32_e32 v11, 0x1000, v3
	v_lshrrev_b32_e32 v18, v5, v11
	s_delay_alu instid0(VALU_DEP_1) | instskip(NEXT) | instid1(VALU_DEP_1)
	v_lshlrev_b32_e32 v5, v5, v18
	v_cmp_ne_u32_e32 vcc_lo, v5, v11
	v_lshl_or_b32 v11, v20, 12, v3
	v_cndmask_b32_e64 v5, 0, 1, vcc_lo
	v_cmp_gt_i32_e32 vcc_lo, 1, v20
	s_delay_alu instid0(VALU_DEP_2) | instskip(NEXT) | instid1(VALU_DEP_1)
	v_or_b32_e32 v5, v18, v5
	v_cndmask_b32_e32 v5, v11, v5, vcc_lo
	ds_load_2addr_b32 v[11:12], v196 offset0:114 offset1:163
	s_waitcnt lgkmcnt(0)
	v_lshrrev_b32_e32 v30, 16, v11
	v_mul_f16_e32 v18, v35, v11
	s_delay_alu instid0(VALU_DEP_1) | instskip(NEXT) | instid1(VALU_DEP_1)
	v_fma_f16 v18, v34, v30, -v18
	v_cvt_f32_f16_e32 v18, v18
	s_delay_alu instid0(VALU_DEP_1) | instskip(NEXT) | instid1(VALU_DEP_1)
	v_cvt_f64_f32_e32 v[18:19], v18
	v_mul_f64 v[27:28], v[18:19], s[10:11]
	s_delay_alu instid0(VALU_DEP_1) | instskip(SKIP_2) | instid1(VALU_DEP_3)
	v_and_or_b32 v18, 0x1ff, v28, v27
	v_lshrrev_b32_e32 v19, 8, v28
	v_bfe_u32 v31, v28, 20, 11
	v_cmp_ne_u32_e32 vcc_lo, 0, v18
	v_cndmask_b32_e64 v18, 0, 1, vcc_lo
	s_delay_alu instid0(VALU_DEP_1) | instskip(SKIP_2) | instid1(VALU_DEP_2)
	v_and_or_b32 v18, 0xffe, v19, v18
	v_and_b32_e32 v19, 7, v5
	v_lshrrev_b32_e32 v5, 2, v5
	v_cmp_lt_i32_e32 vcc_lo, 5, v19
	v_cmp_eq_u32_e64 s1, 3, v19
	v_cndmask_b32_e64 v19, 0, 1, s0
	v_cmp_ne_u32_e64 s0, 0, v3
	v_add_nc_u32_e32 v3, 0xfffffc10, v15
	s_delay_alu instid0(VALU_DEP_4) | instskip(NEXT) | instid1(VALU_DEP_3)
	s_or_b32 vcc_lo, s1, vcc_lo
	v_or_b32_e32 v17, v17, v19
	v_add_co_ci_u32_e32 v5, vcc_lo, 0, v5, vcc_lo
	s_delay_alu instid0(VALU_DEP_3) | instskip(SKIP_3) | instid1(VALU_DEP_3)
	v_lshl_or_b32 v15, v3, 12, v7
	v_cmp_gt_i32_e64 s2, 1, v3
	v_cmp_gt_i32_e32 vcc_lo, 31, v20
	v_cmp_ne_u32_e64 s1, 0, v7
	v_cndmask_b32_e64 v15, v15, v17, s2
	v_cndmask_b32_e64 v17, 0, 1, s0
	v_cndmask_b32_e32 v5, 0x7c00, v5, vcc_lo
	v_cmp_eq_u32_e32 vcc_lo, 0x40f, v20
	s_delay_alu instid0(VALU_DEP_4) | instskip(NEXT) | instid1(VALU_DEP_4)
	v_lshrrev_b32_e32 v7, 2, v15
	v_lshl_or_b32 v17, v17, 9, 0x7c00
	s_delay_alu instid0(VALU_DEP_1) | instskip(SKIP_1) | instid1(VALU_DEP_1)
	v_cndmask_b32_e32 v5, v5, v17, vcc_lo
	v_and_b32_e32 v17, 7, v15
	v_cmp_lt_i32_e32 vcc_lo, 5, v17
	v_cmp_eq_u32_e64 s0, 3, v17
	v_lshrrev_b32_e32 v17, 16, v13
	v_cndmask_b32_e64 v13, 0, 1, s1
	s_delay_alu instid0(VALU_DEP_3) | instskip(NEXT) | instid1(VALU_DEP_2)
	s_or_b32 vcc_lo, s0, vcc_lo
	v_and_or_b32 v5, 0x8000, v17, v5
	v_add_co_ci_u32_e32 v7, vcc_lo, 0, v7, vcc_lo
	v_cmp_gt_i32_e32 vcc_lo, 31, v3
	v_lshl_or_b32 v13, v13, 9, 0x7c00
	s_delay_alu instid0(VALU_DEP_4) | instskip(NEXT) | instid1(VALU_DEP_4)
	v_and_b32_e32 v5, 0xffff, v5
	v_cndmask_b32_e32 v7, 0x7c00, v7, vcc_lo
	v_cmp_eq_u32_e32 vcc_lo, 0x40f, v3
	v_cvt_f32_f16_e32 v3, v14
	s_delay_alu instid0(VALU_DEP_3) | instskip(NEXT) | instid1(VALU_DEP_2)
	v_cndmask_b32_e32 v7, v7, v13, vcc_lo
	v_cvt_f64_f32_e32 v[13:14], v3
	v_lshrrev_b32_e32 v3, 16, v16
	s_delay_alu instid0(VALU_DEP_1) | instskip(SKIP_1) | instid1(VALU_DEP_2)
	v_and_or_b32 v3, 0x8000, v3, v7
	v_or_b32_e32 v7, 0x1000, v18
	v_lshl_or_b32 v3, v3, 16, v5
	global_store_b32 v[9:10], v3, off
	v_mul_f64 v[14:15], v[13:14], s[10:11]
	v_sub_nc_u32_e32 v13, 0x3f1, v31
	s_delay_alu instid0(VALU_DEP_1) | instskip(NEXT) | instid1(VALU_DEP_1)
	v_med3_i32 v13, v13, 0, 13
	v_lshrrev_b32_e32 v33, v13, v7
	s_delay_alu instid0(VALU_DEP_1)
	v_lshlrev_b32_e32 v5, v13, v33
	v_add_co_u32 v13, vcc_lo, v9, s13
	scratch_load_b32 v9, off, off offset:128 ; 4-byte Folded Reload
	v_cmp_ne_u32_e64 s1, v5, v7
	scratch_load_b32 v7, off, off offset:132 ; 4-byte Folded Reload
	v_and_or_b32 v3, 0x1ff, v15, v14
	v_add_co_ci_u32_e32 v14, vcc_lo, s12, v10, vcc_lo
	v_lshrrev_b32_e32 v5, 8, v15
	v_bfe_u32 v25, v15, 20, 11
	s_delay_alu instid0(VALU_DEP_4) | instskip(SKIP_1) | instid1(VALU_DEP_1)
	v_cmp_ne_u32_e32 vcc_lo, 0, v3
	v_cndmask_b32_e64 v3, 0, 1, vcc_lo
	v_and_or_b32 v24, 0xffe, v5, v3
	s_delay_alu instid0(VALU_DEP_4) | instskip(SKIP_1) | instid1(VALU_DEP_3)
	v_sub_nc_u32_e32 v3, 0x3f1, v25
	v_add_nc_u32_e32 v25, 0xfffffc10, v25
	v_or_b32_e32 v5, 0x1000, v24
	s_delay_alu instid0(VALU_DEP_3) | instskip(NEXT) | instid1(VALU_DEP_1)
	v_med3_i32 v3, v3, 0, 13
	v_lshrrev_b32_e32 v29, v3, v5
	s_delay_alu instid0(VALU_DEP_1) | instskip(NEXT) | instid1(VALU_DEP_1)
	v_lshlrev_b32_e32 v3, v3, v29
	v_cmp_ne_u32_e32 vcc_lo, v3, v5
	v_lshrrev_b32_e32 v3, 16, v8
	s_waitcnt vmcnt(0)
	s_delay_alu instid0(VALU_DEP_1) | instskip(SKIP_1) | instid1(VALU_DEP_2)
	v_mul_f16_e32 v5, v7, v3
	v_mul_f16_e32 v7, v7, v8
	v_fmac_f16_e32 v5, v9, v8
	s_delay_alu instid0(VALU_DEP_2)
	v_fma_f16 v3, v9, v3, -v7
	ds_load_2addr_b32 v[9:10], v195 offset0:32 offset1:81
	v_cvt_f32_f16_e32 v5, v5
	v_cvt_f32_f16_e32 v3, v3
	s_waitcnt lgkmcnt(0)
	v_lshrrev_b32_e32 v23, 16, v9
	v_mul_f16_e32 v7, v40, v9
	s_delay_alu instid0(VALU_DEP_1) | instskip(NEXT) | instid1(VALU_DEP_1)
	v_fma_f16 v7, v39, v23, -v7
	v_cvt_f32_f16_e32 v7, v7
	s_delay_alu instid0(VALU_DEP_1) | instskip(NEXT) | instid1(VALU_DEP_1)
	v_cvt_f64_f32_e32 v[7:8], v7
	v_mul_f64 v[19:20], v[7:8], s[10:11]
	s_delay_alu instid0(VALU_DEP_1) | instskip(SKIP_3) | instid1(VALU_DEP_4)
	v_and_or_b32 v7, 0x1ff, v20, v19
	v_lshrrev_b32_e32 v8, 8, v20
	v_bfe_u32 v22, v20, 20, 11
	v_lshrrev_b32_e32 v20, 16, v20
	v_cmp_ne_u32_e64 s0, 0, v7
	s_delay_alu instid0(VALU_DEP_1) | instskip(NEXT) | instid1(VALU_DEP_1)
	v_cndmask_b32_e64 v7, 0, 1, s0
	v_and_or_b32 v21, 0xffe, v8, v7
	v_sub_nc_u32_e32 v7, 0x3f1, v22
	v_add_nc_u32_e32 v22, 0xfffffc10, v22
	s_delay_alu instid0(VALU_DEP_3) | instskip(NEXT) | instid1(VALU_DEP_3)
	v_or_b32_e32 v8, 0x1000, v21
	v_med3_i32 v7, v7, 0, 13
	s_delay_alu instid0(VALU_DEP_1) | instskip(NEXT) | instid1(VALU_DEP_1)
	v_lshrrev_b32_e32 v32, v7, v8
	v_lshlrev_b32_e32 v7, v7, v32
	s_delay_alu instid0(VALU_DEP_1) | instskip(SKIP_1) | instid1(VALU_DEP_1)
	v_cmp_ne_u32_e64 s3, v7, v8
	v_cvt_f64_f32_e32 v[7:8], v5
	v_mul_f64 v[16:17], v[7:8], s[10:11]
	s_delay_alu instid0(VALU_DEP_1) | instskip(SKIP_2) | instid1(VALU_DEP_3)
	v_and_or_b32 v5, 0x1ff, v17, v16
	v_lshrrev_b32_e32 v7, 8, v17
	v_bfe_u32 v26, v17, 20, 11
	v_cmp_ne_u32_e64 s0, 0, v5
	s_delay_alu instid0(VALU_DEP_1) | instskip(NEXT) | instid1(VALU_DEP_1)
	v_cndmask_b32_e64 v5, 0, 1, s0
	v_and_or_b32 v5, 0xffe, v7, v5
	s_delay_alu instid0(VALU_DEP_4) | instskip(NEXT) | instid1(VALU_DEP_2)
	v_sub_nc_u32_e32 v7, 0x3f1, v26
	v_or_b32_e32 v8, 0x1000, v5
	s_delay_alu instid0(VALU_DEP_2) | instskip(NEXT) | instid1(VALU_DEP_1)
	v_med3_i32 v7, v7, 0, 13
	v_lshrrev_b32_e32 v27, v7, v8
	s_delay_alu instid0(VALU_DEP_1) | instskip(NEXT) | instid1(VALU_DEP_1)
	v_lshlrev_b32_e32 v7, v7, v27
	v_cmp_ne_u32_e64 s0, v7, v8
	v_mul_f16_e32 v7, v35, v30
	s_delay_alu instid0(VALU_DEP_1) | instskip(NEXT) | instid1(VALU_DEP_1)
	v_fmac_f16_e32 v7, v34, v11
	v_cvt_f32_f16_e32 v7, v7
	s_delay_alu instid0(VALU_DEP_1) | instskip(NEXT) | instid1(VALU_DEP_1)
	v_cvt_f64_f32_e32 v[7:8], v7
	v_mul_f64 v[7:8], v[7:8], s[10:11]
	s_delay_alu instid0(VALU_DEP_1) | instskip(SKIP_1) | instid1(VALU_DEP_2)
	v_and_or_b32 v7, 0x1ff, v8, v7
	v_lshrrev_b32_e32 v11, 8, v8
	v_cmp_ne_u32_e64 s2, 0, v7
	s_delay_alu instid0(VALU_DEP_1) | instskip(NEXT) | instid1(VALU_DEP_1)
	v_cndmask_b32_e64 v7, 0, 1, s2
	v_and_or_b32 v7, 0xffe, v11, v7
	v_bfe_u32 v11, v8, 20, 11
	v_lshrrev_b32_e32 v8, 16, v8
	s_delay_alu instid0(VALU_DEP_3) | instskip(NEXT) | instid1(VALU_DEP_3)
	v_or_b32_e32 v19, 0x1000, v7
	v_sub_nc_u32_e32 v16, 0x3f1, v11
	v_add_nc_u32_e32 v11, 0xfffffc10, v11
	v_cmp_ne_u32_e64 s5, 0, v7
	s_delay_alu instid0(VALU_DEP_3) | instskip(NEXT) | instid1(VALU_DEP_1)
	v_med3_i32 v16, v16, 0, 13
	v_lshrrev_b32_e32 v30, v16, v19
	s_delay_alu instid0(VALU_DEP_1) | instskip(NEXT) | instid1(VALU_DEP_1)
	v_lshlrev_b32_e32 v16, v16, v30
	v_cmp_ne_u32_e64 s2, v16, v19
	v_lshl_or_b32 v19, v11, 12, v7
	v_cndmask_b32_e64 v7, 0, 1, s1
	s_delay_alu instid0(VALU_DEP_3) | instskip(SKIP_1) | instid1(VALU_DEP_3)
	v_cndmask_b32_e64 v16, 0, 1, s2
	v_cmp_gt_i32_e64 s2, 1, v11
	v_or_b32_e32 v7, v33, v7
	s_delay_alu instid0(VALU_DEP_3) | instskip(NEXT) | instid1(VALU_DEP_1)
	v_or_b32_e32 v16, v30, v16
	v_cndmask_b32_e64 v16, v19, v16, s2
	s_delay_alu instid0(VALU_DEP_1) | instskip(SKIP_1) | instid1(VALU_DEP_2)
	v_and_b32_e32 v19, 7, v16
	v_lshrrev_b32_e32 v16, 2, v16
	v_cmp_lt_i32_e64 s2, 5, v19
	v_cmp_eq_u32_e64 s4, 3, v19
	v_add_nc_u32_e32 v19, 0xfffffc10, v31
	s_delay_alu instid0(VALU_DEP_1) | instskip(SKIP_1) | instid1(VALU_DEP_1)
	v_lshl_or_b32 v30, v19, 12, v18
	v_cmp_gt_i32_e64 s1, 1, v19
	v_cndmask_b32_e64 v7, v30, v7, s1
	s_or_b32 s1, s4, s2
	v_cndmask_b32_e64 v30, 0, 1, s5
	v_add_co_ci_u32_e64 v16, s1, 0, v16, s1
	v_cmp_gt_i32_e64 s1, 31, v11
	v_cmp_ne_u32_e64 s4, 0, v18
	s_delay_alu instid0(VALU_DEP_4) | instskip(NEXT) | instid1(VALU_DEP_3)
	v_lshl_or_b32 v30, v30, 9, 0x7c00
	v_cndmask_b32_e64 v16, 0x7c00, v16, s1
	v_cmp_eq_u32_e64 s1, 0x40f, v11
	s_delay_alu instid0(VALU_DEP_1) | instskip(SKIP_2) | instid1(VALU_DEP_3)
	v_cndmask_b32_e64 v11, v16, v30, s1
	v_and_b32_e32 v16, 7, v7
	v_lshrrev_b32_e32 v7, 2, v7
	v_and_or_b32 v8, 0x8000, v8, v11
	s_delay_alu instid0(VALU_DEP_3) | instskip(SKIP_2) | instid1(VALU_DEP_4)
	v_cmp_lt_i32_e64 s1, 5, v16
	v_cmp_eq_u32_e64 s2, 3, v16
	v_cndmask_b32_e64 v16, 0, 1, s4
	v_and_b32_e32 v8, 0xffff, v8
	s_delay_alu instid0(VALU_DEP_3) | instskip(NEXT) | instid1(VALU_DEP_2)
	s_or_b32 s1, s2, s1
	v_lshl_or_b32 v16, v16, 9, 0x7c00
	v_add_co_ci_u32_e64 v7, s1, 0, v7, s1
	v_cmp_gt_i32_e64 s1, 31, v19
	s_delay_alu instid0(VALU_DEP_1) | instskip(SKIP_1) | instid1(VALU_DEP_1)
	v_cndmask_b32_e64 v7, 0x7c00, v7, s1
	v_cmp_eq_u32_e64 s1, 0x40f, v19
	v_cndmask_b32_e64 v7, v7, v16, s1
	v_lshrrev_b32_e32 v16, 16, v28
	v_add_co_u32 v34, s1, v13, s13
	s_delay_alu instid0(VALU_DEP_1) | instskip(NEXT) | instid1(VALU_DEP_3)
	v_add_co_ci_u32_e64 v35, s1, s12, v14, s1
	v_and_or_b32 v7, 0x8000, v16, v7
	s_delay_alu instid0(VALU_DEP_1)
	v_lshl_or_b32 v7, v7, 16, v8
	global_store_b32 v[13:14], v7, off
	v_cvt_f64_f32_e32 v[7:8], v3
	s_clause 0x1
	scratch_load_b32 v13, off, off offset:108
	scratch_load_b32 v14, off, off offset:104
	v_mul_f64 v[18:19], v[7:8], s[10:11]
	scratch_load_b32 v8, off, off offset:112 ; 4-byte Folded Reload
	v_and_or_b32 v3, 0x1ff, v19, v18
	v_lshrrev_b32_e32 v7, 8, v19
	v_bfe_u32 v18, v19, 20, 11
	v_lshrrev_b32_e32 v19, 16, v19
	s_delay_alu instid0(VALU_DEP_4) | instskip(NEXT) | instid1(VALU_DEP_1)
	v_cmp_ne_u32_e64 s1, 0, v3
	v_cndmask_b32_e64 v3, 0, 1, s1
	s_delay_alu instid0(VALU_DEP_1) | instskip(SKIP_2) | instid1(VALU_DEP_3)
	v_and_or_b32 v11, 0xffe, v7, v3
	v_sub_nc_u32_e32 v3, 0x3f1, v18
	v_add_nc_u32_e32 v18, 0xfffffc10, v18
	v_or_b32_e32 v7, 0x1000, v11
	s_delay_alu instid0(VALU_DEP_3) | instskip(NEXT) | instid1(VALU_DEP_1)
	v_med3_i32 v3, v3, 0, 13
	v_lshrrev_b32_e32 v28, v3, v7
	s_delay_alu instid0(VALU_DEP_1) | instskip(NEXT) | instid1(VALU_DEP_1)
	v_lshlrev_b32_e32 v3, v3, v28
	v_cmp_ne_u32_e64 s1, v3, v7
	scratch_load_b32 v7, off, off offset:116 ; 4-byte Folded Reload
	v_lshrrev_b32_e32 v3, 16, v6
	s_waitcnt vmcnt(0)
	s_delay_alu instid0(VALU_DEP_1) | instskip(SKIP_1) | instid1(VALU_DEP_2)
	v_mul_f16_e32 v16, v7, v3
	v_mul_f16_e32 v7, v7, v6
	v_fmac_f16_e32 v16, v8, v6
	s_delay_alu instid0(VALU_DEP_2) | instskip(SKIP_4) | instid1(VALU_DEP_2)
	v_fma_f16 v33, v8, v3, -v7
	ds_load_2addr_b32 v[7:8], v186 offset0:206 offset1:255
	s_waitcnt lgkmcnt(0)
	v_lshrrev_b32_e32 v3, 16, v7
	v_mul_f16_e32 v6, v13, v7
	v_mul_f16_e32 v13, v13, v3
	s_delay_alu instid0(VALU_DEP_2) | instskip(NEXT) | instid1(VALU_DEP_2)
	v_fma_f16 v36, v14, v3, -v6
	v_fmac_f16_e32 v13, v14, v7
	s_delay_alu instid0(VALU_DEP_1) | instskip(NEXT) | instid1(VALU_DEP_1)
	v_cvt_f32_f16_e32 v3, v13
	v_cvt_f64_f32_e32 v[6:7], v3
	s_delay_alu instid0(VALU_DEP_1) | instskip(NEXT) | instid1(VALU_DEP_1)
	v_mul_f64 v[13:14], v[6:7], s[10:11]
	v_and_or_b32 v3, 0x1ff, v14, v13
	v_lshrrev_b32_e32 v6, 8, v14
	v_bfe_u32 v30, v14, 20, 11
	s_delay_alu instid0(VALU_DEP_3) | instskip(NEXT) | instid1(VALU_DEP_1)
	v_cmp_ne_u32_e64 s2, 0, v3
	v_cndmask_b32_e64 v3, 0, 1, s2
	s_delay_alu instid0(VALU_DEP_1) | instskip(NEXT) | instid1(VALU_DEP_4)
	v_and_or_b32 v3, 0xffe, v6, v3
	v_sub_nc_u32_e32 v6, 0x3f1, v30
	v_add_nc_u32_e32 v30, 0xfffffc10, v30
	s_delay_alu instid0(VALU_DEP_3) | instskip(NEXT) | instid1(VALU_DEP_3)
	v_or_b32_e32 v7, 0x1000, v3
	v_med3_i32 v6, v6, 0, 13
	s_delay_alu instid0(VALU_DEP_1) | instskip(NEXT) | instid1(VALU_DEP_1)
	v_lshrrev_b32_e32 v31, v6, v7
	v_lshlrev_b32_e32 v6, v6, v31
	s_delay_alu instid0(VALU_DEP_1) | instskip(SKIP_1) | instid1(VALU_DEP_1)
	v_cmp_ne_u32_e64 s2, v6, v7
	v_cvt_f64_f32_e32 v[6:7], v1
	v_mul_f64 v[6:7], v[6:7], s[10:11]
	s_delay_alu instid0(VALU_DEP_1) | instskip(SKIP_1) | instid1(VALU_DEP_2)
	v_and_or_b32 v1, 0x1ff, v7, v6
	v_lshrrev_b32_e32 v6, 8, v7
	v_cmp_ne_u32_e64 s4, 0, v1
	s_delay_alu instid0(VALU_DEP_1) | instskip(NEXT) | instid1(VALU_DEP_1)
	v_cndmask_b32_e64 v1, 0, 1, s4
	v_and_or_b32 v1, 0xffe, v6, v1
	v_bfe_u32 v6, v7, 20, 11
	s_delay_alu instid0(VALU_DEP_2) | instskip(NEXT) | instid1(VALU_DEP_2)
	v_or_b32_e32 v37, 0x1000, v1
	v_sub_nc_u32_e32 v13, 0x3f1, v6
	v_add_nc_u32_e32 v6, 0xfffffc10, v6
	v_cmp_ne_u32_e64 s5, 0, v1
	s_delay_alu instid0(VALU_DEP_3) | instskip(NEXT) | instid1(VALU_DEP_1)
	v_med3_i32 v13, v13, 0, 13
	v_lshrrev_b32_e32 v38, v13, v37
	s_delay_alu instid0(VALU_DEP_1) | instskip(NEXT) | instid1(VALU_DEP_1)
	v_lshlrev_b32_e32 v13, v13, v38
	v_cmp_ne_u32_e64 s4, v13, v37
	v_lshl_or_b32 v37, v6, 12, v1
	s_delay_alu instid0(VALU_DEP_2) | instskip(SKIP_1) | instid1(VALU_DEP_2)
	v_cndmask_b32_e64 v13, 0, 1, s4
	v_cmp_gt_i32_e64 s4, 1, v6
	v_or_b32_e32 v13, v38, v13
	scratch_load_b32 v38, off, off offset:84 ; 4-byte Folded Reload
	v_cndmask_b32_e64 v13, v37, v13, s4
	v_cndmask_b32_e64 v37, 0, 1, vcc_lo
	v_cmp_gt_i32_e32 vcc_lo, 1, v25
	s_delay_alu instid0(VALU_DEP_2) | instskip(SKIP_1) | instid1(VALU_DEP_1)
	v_or_b32_e32 v29, v29, v37
	v_lshl_or_b32 v37, v25, 12, v24
	v_cndmask_b32_e32 v29, v37, v29, vcc_lo
	v_and_b32_e32 v37, 7, v13
	s_delay_alu instid0(VALU_DEP_2) | instskip(NEXT) | instid1(VALU_DEP_2)
	v_and_b32_e32 v1, 7, v29
	v_cmp_lt_i32_e32 vcc_lo, 5, v37
	v_cmp_eq_u32_e64 s4, 3, v37
	scratch_load_b32 v37, off, off offset:80 ; 4-byte Folded Reload
	v_cmp_lt_i32_e64 s6, 5, v1
	v_cmp_eq_u32_e64 s7, 3, v1
	v_lshrrev_b32_e32 v1, 2, v13
	s_or_b32 vcc_lo, s4, vcc_lo
	v_cndmask_b32_e64 v13, 0, 1, s5
	s_delay_alu instid0(VALU_DEP_3) | instskip(NEXT) | instid1(VALU_DEP_2)
	s_or_b32 s4, s7, s6
	v_add_co_ci_u32_e32 v1, vcc_lo, 0, v1, vcc_lo
	v_cmp_gt_i32_e32 vcc_lo, 31, v6
	s_delay_alu instid0(VALU_DEP_3) | instskip(NEXT) | instid1(VALU_DEP_3)
	v_lshl_or_b32 v13, v13, 9, 0x7c00
	v_cndmask_b32_e32 v1, 0x7c00, v1, vcc_lo
	v_cmp_eq_u32_e32 vcc_lo, 0x40f, v6
	v_lshrrev_b32_e32 v6, 16, v7
	v_lshrrev_b32_e32 v7, 2, v29
	s_delay_alu instid0(VALU_DEP_4) | instskip(SKIP_1) | instid1(VALU_DEP_3)
	v_cndmask_b32_e32 v1, v1, v13, vcc_lo
	v_cmp_ne_u32_e32 vcc_lo, 0, v24
	v_add_co_ci_u32_e64 v7, s4, 0, v7, s4
	v_cmp_gt_i32_e64 s4, 31, v25
	s_delay_alu instid0(VALU_DEP_4) | instskip(SKIP_2) | instid1(VALU_DEP_4)
	v_and_or_b32 v1, 0x8000, v6, v1
	v_cndmask_b32_e64 v13, 0, 1, vcc_lo
	v_cmp_eq_u32_e32 vcc_lo, 0x40f, v25
	v_cndmask_b32_e64 v7, 0x7c00, v7, s4
	s_delay_alu instid0(VALU_DEP_4) | instskip(NEXT) | instid1(VALU_DEP_4)
	v_and_b32_e32 v1, 0xffff, v1
	v_lshl_or_b32 v13, v13, 9, 0x7c00
	s_delay_alu instid0(VALU_DEP_1) | instskip(SKIP_1) | instid1(VALU_DEP_1)
	v_cndmask_b32_e32 v7, v7, v13, vcc_lo
	v_lshrrev_b32_e32 v13, 16, v15
	v_and_or_b32 v6, 0x8000, v13, v7
	s_delay_alu instid0(VALU_DEP_1) | instskip(SKIP_4) | instid1(VALU_DEP_1)
	v_lshl_or_b32 v1, v6, 16, v1
	v_add_co_u32 v6, vcc_lo, v34, s13
	v_add_co_ci_u32_e32 v7, vcc_lo, s12, v35, vcc_lo
	global_store_b32 v[34:35], v1, off
	v_cvt_f32_f16_e32 v1, v16
	v_cvt_f64_f32_e32 v[15:16], v1
	s_delay_alu instid0(VALU_DEP_1) | instskip(NEXT) | instid1(VALU_DEP_1)
	v_mul_f64 v[15:16], v[15:16], s[10:11]
	v_and_or_b32 v1, 0x1ff, v16, v15
	v_lshrrev_b32_e32 v13, 8, v16
	v_bfe_u32 v24, v16, 20, 11
	v_lshrrev_b32_e32 v16, 16, v16
	s_delay_alu instid0(VALU_DEP_4) | instskip(SKIP_1) | instid1(VALU_DEP_1)
	v_cmp_ne_u32_e32 vcc_lo, 0, v1
	v_cndmask_b32_e64 v1, 0, 1, vcc_lo
	v_and_or_b32 v1, 0xffe, v13, v1
	v_sub_nc_u32_e32 v13, 0x3f1, v24
	s_delay_alu instid0(VALU_DEP_2) | instskip(NEXT) | instid1(VALU_DEP_2)
	v_or_b32_e32 v15, 0x1000, v1
	v_med3_i32 v13, v13, 0, 13
	s_delay_alu instid0(VALU_DEP_1) | instskip(NEXT) | instid1(VALU_DEP_1)
	v_lshrrev_b32_e32 v25, v13, v15
	v_lshlrev_b32_e32 v13, v13, v25
	s_delay_alu instid0(VALU_DEP_1) | instskip(SKIP_1) | instid1(VALU_DEP_1)
	v_cmp_ne_u32_e32 vcc_lo, v13, v15
	v_mul_f16_e32 v13, v40, v23
	v_fmac_f16_e32 v13, v39, v9
	s_delay_alu instid0(VALU_DEP_1) | instskip(NEXT) | instid1(VALU_DEP_1)
	v_cvt_f32_f16_e32 v9, v13
	v_cvt_f64_f32_e32 v[34:35], v9
	s_delay_alu instid0(VALU_DEP_1) | instskip(NEXT) | instid1(VALU_DEP_1)
	v_mul_f64 v[34:35], v[34:35], s[10:11]
	v_and_or_b32 v9, 0x1ff, v35, v34
	v_lshrrev_b32_e32 v13, 8, v35
	scratch_load_b32 v34, off, off offset:88 ; 4-byte Folded Reload
	v_cmp_ne_u32_e64 s4, 0, v9
	s_delay_alu instid0(VALU_DEP_1) | instskip(NEXT) | instid1(VALU_DEP_1)
	v_cndmask_b32_e64 v9, 0, 1, s4
	v_and_or_b32 v9, 0xffe, v13, v9
	v_bfe_u32 v13, v35, 20, 11
	s_delay_alu instid0(VALU_DEP_2) | instskip(NEXT) | instid1(VALU_DEP_2)
	v_or_b32_e32 v23, 0x1000, v9
	v_sub_nc_u32_e32 v15, 0x3f1, v13
	v_add_nc_u32_e32 v13, 0xfffffc10, v13
	v_cmp_ne_u32_e64 s5, 0, v9
	s_delay_alu instid0(VALU_DEP_3) | instskip(NEXT) | instid1(VALU_DEP_1)
	v_med3_i32 v15, v15, 0, 13
	v_lshrrev_b32_e32 v29, v15, v23
	s_delay_alu instid0(VALU_DEP_1) | instskip(NEXT) | instid1(VALU_DEP_1)
	v_lshlrev_b32_e32 v15, v15, v29
	v_cmp_ne_u32_e64 s4, v15, v23
	v_lshl_or_b32 v23, v13, 12, v9
	s_delay_alu instid0(VALU_DEP_2) | instskip(SKIP_1) | instid1(VALU_DEP_2)
	v_cndmask_b32_e64 v15, 0, 1, s4
	v_cmp_gt_i32_e64 s4, 1, v13
	v_or_b32_e32 v15, v29, v15
	v_lshl_or_b32 v29, v22, 12, v21
	s_delay_alu instid0(VALU_DEP_2) | instskip(SKIP_2) | instid1(VALU_DEP_2)
	v_cndmask_b32_e64 v15, v23, v15, s4
	v_cndmask_b32_e64 v23, 0, 1, s3
	v_cmp_gt_i32_e64 s3, 1, v22
	v_or_b32_e32 v23, v32, v23
	s_delay_alu instid0(VALU_DEP_1) | instskip(SKIP_1) | instid1(VALU_DEP_2)
	v_cndmask_b32_e64 v23, v29, v23, s3
	v_and_b32_e32 v29, 7, v15
	v_and_b32_e32 v9, 7, v23
	s_delay_alu instid0(VALU_DEP_2)
	v_cmp_lt_i32_e64 s3, 5, v29
	v_cmp_eq_u32_e64 s4, 3, v29
	scratch_load_b32 v29, off, off offset:96 ; 4-byte Folded Reload
	v_cmp_lt_i32_e64 s6, 5, v9
	v_cmp_eq_u32_e64 s7, 3, v9
	v_lshrrev_b32_e32 v9, 2, v15
	s_or_b32 s3, s4, s3
	v_cndmask_b32_e64 v15, 0, 1, s5
	s_delay_alu instid0(VALU_DEP_3) | instskip(NEXT) | instid1(VALU_DEP_2)
	s_or_b32 s4, s7, s6
	v_add_co_ci_u32_e64 v9, s3, 0, v9, s3
	v_cmp_gt_i32_e64 s3, 31, v13
	s_delay_alu instid0(VALU_DEP_3) | instskip(NEXT) | instid1(VALU_DEP_2)
	v_lshl_or_b32 v15, v15, 9, 0x7c00
	v_cndmask_b32_e64 v9, 0x7c00, v9, s3
	v_cmp_eq_u32_e64 s3, 0x40f, v13
	v_lshrrev_b32_e32 v13, 16, v35
	scratch_load_b32 v35, off, off offset:92 ; 4-byte Folded Reload
	v_cndmask_b32_e64 v9, v9, v15, s3
	v_lshrrev_b32_e32 v15, 2, v23
	v_cmp_ne_u32_e64 s3, 0, v21
	s_delay_alu instid0(VALU_DEP_3) | instskip(NEXT) | instid1(VALU_DEP_3)
	v_and_or_b32 v9, 0x8000, v13, v9
	v_add_co_ci_u32_e64 v15, s4, 0, v15, s4
	v_cmp_gt_i32_e64 s4, 31, v22
	s_delay_alu instid0(VALU_DEP_4) | instskip(SKIP_2) | instid1(VALU_DEP_4)
	v_cndmask_b32_e64 v21, 0, 1, s3
	v_cmp_eq_u32_e64 s3, 0x40f, v22
	v_and_b32_e32 v9, 0xffff, v9
	v_cndmask_b32_e64 v15, 0x7c00, v15, s4
	s_delay_alu instid0(VALU_DEP_4) | instskip(NEXT) | instid1(VALU_DEP_1)
	v_lshl_or_b32 v21, v21, 9, 0x7c00
	v_cndmask_b32_e64 v15, v15, v21, s3
	s_delay_alu instid0(VALU_DEP_1) | instskip(SKIP_1) | instid1(VALU_DEP_1)
	v_and_or_b32 v13, 0x8000, v20, v15
	v_add_co_u32 v20, s3, v6, s13
	v_add_co_ci_u32_e64 v21, s3, s12, v7, s3
	s_delay_alu instid0(VALU_DEP_3)
	v_lshl_or_b32 v9, v13, 16, v9
	v_lshrrev_b32_e32 v13, 16, v12
	global_store_b32 v[6:7], v9, off
	scratch_load_b32 v7, off, off offset:100 ; 4-byte Folded Reload
	v_cvt_f32_f16_e32 v6, v36
	s_waitcnt vmcnt(0)
	v_mul_f16_e32 v9, v7, v13
	s_delay_alu instid0(VALU_DEP_1) | instskip(SKIP_2) | instid1(VALU_DEP_3)
	v_fmac_f16_e32 v9, v29, v12
	v_mul_f16_e32 v12, v7, v12
	v_cvt_f64_f32_e32 v[6:7], v6
	v_cvt_f32_f16_e32 v9, v9
	s_delay_alu instid0(VALU_DEP_2) | instskip(NEXT) | instid1(VALU_DEP_1)
	v_mul_f64 v[22:23], v[6:7], s[10:11]
	v_and_or_b32 v6, 0x1ff, v23, v22
	v_lshrrev_b32_e32 v7, 8, v23
	v_add_nc_u32_e32 v22, 0xfffffc10, v26
	s_delay_alu instid0(VALU_DEP_3) | instskip(NEXT) | instid1(VALU_DEP_1)
	v_cmp_ne_u32_e64 s3, 0, v6
	v_cndmask_b32_e64 v6, 0, 1, s3
	s_delay_alu instid0(VALU_DEP_1) | instskip(SKIP_3) | instid1(VALU_DEP_3)
	v_and_or_b32 v15, 0xffe, v7, v6
	v_cndmask_b32_e64 v6, 0, 1, s0
	v_lshl_or_b32 v7, v22, 12, v5
	v_cmp_gt_i32_e64 s0, 1, v22
	v_or_b32_e32 v6, v27, v6
	s_delay_alu instid0(VALU_DEP_1) | instskip(SKIP_3) | instid1(VALU_DEP_3)
	v_cndmask_b32_e64 v26, v7, v6, s0
	v_cndmask_b32_e64 v6, 0, 1, s1
	v_lshl_or_b32 v7, v18, 12, v11
	v_cmp_gt_i32_e64 s0, 1, v18
	v_or_b32_e32 v6, v28, v6
	v_fma_f16 v28, v29, v13, -v12
	v_and_b32_e32 v12, 7, v26
	v_lshrrev_b32_e32 v13, 2, v26
	v_bfe_u32 v29, v23, 20, 11
	v_cndmask_b32_e64 v27, v7, v6, s0
	ds_load_2addr_b32 v[6:7], v181 offset0:76 offset1:125
	v_cmp_lt_i32_e64 s0, 5, v12
	v_cmp_eq_u32_e64 s1, 3, v12
	v_cvt_f32_f16_e32 v28, v28
	v_and_b32_e32 v12, 7, v27
	v_lshrrev_b32_e32 v23, 16, v23
	s_delay_alu instid0(VALU_DEP_4) | instskip(SKIP_4) | instid1(VALU_DEP_2)
	s_or_b32 s0, s1, s0
	v_cmp_gt_i32_e64 s1, 31, v22
	v_add_co_ci_u32_e64 v13, s0, 0, v13, s0
	v_cmp_ne_u32_e64 s0, 0, v5
	v_cmp_lt_i32_e64 s3, 5, v12
	v_cndmask_b32_e64 v5, 0, 1, s0
	v_cmp_eq_u32_e64 s0, 3, v12
	v_cndmask_b32_e64 v12, 0x7c00, v13, s1
	v_cmp_eq_u32_e64 s1, 0x40f, v22
	s_waitcnt lgkmcnt(0)
	v_lshrrev_b32_e32 v26, 16, v6
	v_lshl_or_b32 v5, v5, 9, 0x7c00
	v_lshrrev_b32_e32 v22, 2, v27
	s_or_b32 s0, s0, s3
	v_lshrrev_b32_e32 v27, 16, v17
	v_mul_f16_e32 v13, v35, v26
	v_cndmask_b32_e64 v5, v12, v5, s1
	v_add_co_ci_u32_e64 v22, s0, 0, v22, s0
	v_cmp_ne_u32_e64 s0, 0, v11
	s_delay_alu instid0(VALU_DEP_4) | instskip(NEXT) | instid1(VALU_DEP_4)
	v_fmac_f16_e32 v13, v34, v6
	v_and_or_b32 v5, 0x8000, v27, v5
	v_mul_f16_e32 v6, v35, v6
	s_delay_alu instid0(VALU_DEP_4) | instskip(NEXT) | instid1(VALU_DEP_4)
	v_cndmask_b32_e64 v11, 0, 1, s0
	v_cvt_f32_f16_e32 v13, v13
	v_cmp_gt_i32_e64 s0, 31, v18
	s_delay_alu instid0(VALU_DEP_3) | instskip(NEXT) | instid1(VALU_DEP_3)
	v_lshl_or_b32 v11, v11, 9, 0x7c00
	v_cvt_f64_f32_e32 v[12:13], v13
	s_delay_alu instid0(VALU_DEP_3)
	v_cndmask_b32_e64 v17, 0x7c00, v22, s0
	v_cmp_eq_u32_e64 s0, 0x40f, v18
	v_sub_nc_u32_e32 v18, 0x3f1, v29
	v_cvt_f32_f16_e32 v22, v33
	v_and_b32_e32 v33, 0xffff, v5
	v_fma_f16 v5, v34, v26, -v6
	v_cndmask_b32_e64 v11, v17, v11, s0
	v_med3_i32 v32, v18, 0, 13
	v_cvt_f64_f32_e32 v[17:18], v22
	v_or_b32_e32 v22, 0x1000, v15
	v_lshl_or_b32 v26, v30, 12, v3
	v_and_or_b32 v19, 0x8000, v19, v11
	v_cndmask_b32_e64 v11, 0, 1, s2
	s_delay_alu instid0(VALU_DEP_4) | instskip(NEXT) | instid1(VALU_DEP_3)
	v_lshrrev_b32_e32 v27, v32, v22
	v_lshl_or_b32 v19, v19, 16, v33
	s_delay_alu instid0(VALU_DEP_3) | instskip(NEXT) | instid1(VALU_DEP_3)
	v_or_b32_e32 v11, v31, v11
	v_lshlrev_b32_e32 v32, v32, v27
	global_store_b32 v[20:21], v19, off
	v_cmp_ne_u32_e64 s0, v32, v22
	v_add_nc_u32_e32 v22, 0xfffffc10, v29
	v_mul_f64 v[12:13], v[12:13], s[10:11]
	s_delay_alu instid0(VALU_DEP_1) | instskip(NEXT) | instid1(VALU_DEP_4)
	v_and_or_b32 v6, 0x1ff, v13, v12
	v_cndmask_b32_e64 v12, 0, 1, s0
	v_lshrrev_b32_e32 v32, 8, v13
	s_delay_alu instid0(VALU_DEP_3) | instskip(NEXT) | instid1(VALU_DEP_3)
	v_cmp_ne_u32_e64 s0, 0, v6
	v_or_b32_e32 v6, v27, v12
	v_lshl_or_b32 v12, v22, 12, v15
	s_delay_alu instid0(VALU_DEP_3) | instskip(SKIP_1) | instid1(VALU_DEP_2)
	v_cndmask_b32_e64 v29, 0, 1, s0
	v_cmp_gt_i32_e64 s0, 1, v30
	v_and_or_b32 v32, 0xffe, v32, v29
	s_delay_alu instid0(VALU_DEP_2)
	v_cndmask_b32_e64 v31, v26, v11, s0
	v_cmp_gt_i32_e64 s0, 1, v22
	v_mul_f64 v[26:27], v[17:18], s[10:11]
	v_cvt_f32_f16_e32 v11, v5
	v_cvt_f64_f32_e32 v[28:29], v28
	v_and_b32_e32 v35, 7, v31
	v_cndmask_b32_e64 v34, v12, v6, s0
	v_lshrrev_b32_e32 v17, 2, v31
	ds_load_2addr_b32 v[5:6], v161 offset0:122 offset1:171
	v_cvt_f64_f32_e32 v[11:12], v11
	v_cmp_lt_i32_e64 s0, 5, v35
	v_cmp_eq_u32_e64 s1, 3, v35
	v_and_b32_e32 v33, 7, v34
	v_bfe_u32 v35, v13, 20, 11
	v_or_b32_e32 v36, 0x1000, v32
	v_lshrrev_b32_e32 v13, 16, v13
	s_or_b32 s0, s1, s0
	v_cmp_lt_i32_e64 s2, 5, v33
	v_add_co_ci_u32_e64 v31, s0, 0, v17, s0
	v_cmp_ne_u32_e64 s0, 0, v3
	v_cmp_eq_u32_e64 s3, 3, v33
	v_lshrrev_b32_e32 v33, 16, v14
	v_cvt_f64_f32_e32 v[17:18], v9
	s_delay_alu instid0(VALU_DEP_4) | instskip(SKIP_3) | instid1(VALU_DEP_3)
	v_cndmask_b32_e64 v3, 0, 1, s0
	v_cmp_gt_i32_e64 s0, 31, v30
	s_waitcnt lgkmcnt(0)
	v_lshrrev_b32_e32 v9, 16, v5
	v_lshl_or_b32 v3, v3, 9, 0x7c00
	s_delay_alu instid0(VALU_DEP_3) | instskip(SKIP_1) | instid1(VALU_DEP_4)
	v_cndmask_b32_e64 v31, 0x7c00, v31, s0
	v_cmp_eq_u32_e64 s0, 0x40f, v30
	v_mul_f16_e32 v30, v38, v9
	s_delay_alu instid0(VALU_DEP_2) | instskip(SKIP_1) | instid1(VALU_DEP_3)
	v_cndmask_b32_e64 v3, v31, v3, s0
	v_lshrrev_b32_e32 v31, 2, v34
	v_fmac_f16_e32 v30, v37, v5
	s_or_b32 s0, s3, s2
	v_and_or_b32 v26, 0x1ff, v27, v26
	v_and_or_b32 v3, 0x8000, v33, v3
	scratch_load_b32 v33, off, off offset:76 ; 4-byte Folded Reload
	v_add_co_ci_u32_e64 v34, s0, 0, v31, s0
	v_cmp_ne_u32_e64 s0, 0, v15
	v_cvt_f32_f16_e32 v14, v30
	v_mul_f64 v[30:31], v[11:12], s[10:11]
	v_and_b32_e32 v3, 0xffff, v3
	v_mul_f16_e32 v5, v38, v5
	v_cndmask_b32_e64 v15, 0, 1, s0
	v_cmp_gt_i32_e64 s0, 31, v22
	v_cvt_f64_f32_e32 v[11:12], v14
	s_delay_alu instid0(VALU_DEP_4) | instskip(NEXT) | instid1(VALU_DEP_4)
	v_fma_f16 v9, v37, v9, -v5
	v_lshl_or_b32 v15, v15, 9, 0x7c00
	s_delay_alu instid0(VALU_DEP_4) | instskip(SKIP_3) | instid1(VALU_DEP_3)
	v_cndmask_b32_e64 v14, 0x7c00, v34, s0
	v_cmp_eq_u32_e64 s0, 0x40f, v22
	v_sub_nc_u32_e32 v22, 0x3f1, v35
	v_cvt_f32_f16_e32 v9, v9
	v_cndmask_b32_e64 v34, v14, v15, s0
	v_mul_f64 v[14:15], v[17:18], s[10:11]
	v_mul_f64 v[17:18], v[28:29], s[10:11]
	v_cmp_ne_u32_e64 s0, 0, v26
	v_med3_i32 v22, v22, 0, 13
	v_and_or_b32 v23, 0x8000, v23, v34
	v_bfe_u32 v29, v27, 20, 11
	s_delay_alu instid0(VALU_DEP_4)
	v_cndmask_b32_e64 v26, 0, 1, s0
	v_add_co_u32 v19, s0, v20, s13
	v_lshrrev_b32_e32 v28, v22, v36
	v_add_co_ci_u32_e64 v20, s0, s12, v21, s0
	v_lshrrev_b32_e32 v21, 8, v27
	v_lshl_or_b32 v3, v23, 16, v3
	s_delay_alu instid0(VALU_DEP_4)
	v_lshlrev_b32_e32 v22, v22, v28
	v_sub_nc_u32_e32 v23, 0x3f1, v29
	v_lshrrev_b32_e32 v27, 16, v27
	v_and_or_b32 v21, 0xffe, v21, v26
	v_lshrrev_b32_e32 v26, 16, v10
	v_cmp_ne_u32_e64 s0, v22, v36
	global_store_b32 v[19:20], v3, off
	v_and_or_b32 v3, 0x1ff, v31, v30
	v_add_co_u32 v19, s1, v19, s8
	s_delay_alu instid0(VALU_DEP_1) | instskip(SKIP_1) | instid1(VALU_DEP_4)
	v_add_co_ci_u32_e64 v20, s1, s9, v20, s1
	v_mul_f64 v[11:12], v[11:12], s[10:11]
	v_cmp_ne_u32_e64 s1, 0, v3
	v_lshrrev_b32_e32 v30, 8, v31
	v_med3_i32 v23, v23, 0, 13
	v_or_b32_e32 v34, 0x1000, v21
	s_delay_alu instid0(VALU_DEP_4) | instskip(NEXT) | instid1(VALU_DEP_1)
	v_cndmask_b32_e64 v3, 0, 1, s1
	v_and_or_b32 v30, 0xffe, v30, v3
	v_and_or_b32 v3, 0x1ff, v18, v17
	v_lshrrev_b32_e32 v5, 8, v15
	v_lshrrev_b32_e32 v17, 8, v18
	v_bfe_u32 v38, v18, 20, 11
	v_and_or_b32 v11, 0x1ff, v12, v11
	s_waitcnt vmcnt(0)
	v_mul_f16_e32 v22, v33, v26
	v_mul_f16_e32 v33, v33, v10
	s_delay_alu instid0(VALU_DEP_2) | instskip(SKIP_1) | instid1(VALU_DEP_2)
	v_fmac_f16_e32 v22, v41, v10
	v_and_or_b32 v10, 0x1ff, v15, v14
	v_cvt_f32_f16_e32 v22, v22
	s_delay_alu instid0(VALU_DEP_2) | instskip(NEXT) | instid1(VALU_DEP_1)
	v_cmp_ne_u32_e64 s1, 0, v10
	v_cndmask_b32_e64 v10, 0, 1, s1
	v_cmp_ne_u32_e64 s1, 0, v3
	s_delay_alu instid0(VALU_DEP_2) | instskip(SKIP_1) | instid1(VALU_DEP_3)
	v_and_or_b32 v14, 0xffe, v5, v10
	v_lshrrev_b32_e32 v10, v23, v34
	v_cndmask_b32_e64 v3, 0, 1, s1
	s_delay_alu instid0(VALU_DEP_3) | instskip(NEXT) | instid1(VALU_DEP_3)
	v_or_b32_e32 v36, 0x1000, v14
	v_lshlrev_b32_e32 v23, v23, v10
	s_delay_alu instid0(VALU_DEP_3) | instskip(SKIP_2) | instid1(VALU_DEP_4)
	v_and_or_b32 v5, 0xffe, v17, v3
	v_cndmask_b32_e64 v3, 0, 1, vcc_lo
	v_add_nc_u32_e32 v17, 0xfffffc10, v24
	v_cmp_ne_u32_e32 vcc_lo, v23, v34
	v_add_nc_u32_e32 v34, 0xfffffc10, v35
	s_delay_alu instid0(VALU_DEP_4) | instskip(NEXT) | instid1(VALU_DEP_4)
	v_or_b32_e32 v3, v25, v3
	v_lshl_or_b32 v24, v17, 12, v1
	v_add_nc_u32_e32 v25, 0xfffffc10, v29
	v_cndmask_b32_e64 v23, 0, 1, vcc_lo
	v_cmp_gt_i32_e32 vcc_lo, 1, v17
	s_delay_alu instid0(VALU_DEP_4) | instskip(SKIP_1) | instid1(VALU_DEP_4)
	v_cndmask_b32_e32 v24, v24, v3, vcc_lo
	v_cmp_ne_u32_e32 vcc_lo, 0, v11
	v_or_b32_e32 v3, v10, v23
	v_lshl_or_b32 v10, v25, 12, v21
	v_lshrrev_b32_e32 v23, 8, v12
	v_and_b32_e32 v29, 7, v24
	v_cndmask_b32_e64 v11, 0, 1, vcc_lo
	v_cmp_gt_i32_e32 vcc_lo, 1, v25
	v_lshrrev_b32_e32 v24, 2, v24
	s_delay_alu instid0(VALU_DEP_4) | instskip(SKIP_4) | instid1(VALU_DEP_4)
	v_cmp_eq_u32_e64 s1, 3, v29
	v_cndmask_b32_e32 v10, v10, v3, vcc_lo
	v_cmp_lt_i32_e32 vcc_lo, 5, v29
	v_and_or_b32 v3, 0xffe, v23, v11
	v_bfe_u32 v23, v31, 20, 11
	v_and_b32_e32 v11, 7, v10
	s_or_b32 vcc_lo, s1, vcc_lo
	v_lshrrev_b32_e32 v10, 2, v10
	v_add_co_ci_u32_e32 v24, vcc_lo, 0, v24, vcc_lo
	v_cmp_ne_u32_e32 vcc_lo, 0, v1
	v_cmp_lt_i32_e64 s2, 5, v11
	v_cmp_eq_u32_e64 s3, 3, v11
	v_sub_nc_u32_e32 v11, 0x3f1, v23
	v_add_nc_u32_e32 v23, 0xfffffc10, v23
	v_cndmask_b32_e64 v1, 0, 1, vcc_lo
	v_cmp_gt_i32_e32 vcc_lo, 31, v17
	s_delay_alu instid0(VALU_DEP_4) | instskip(NEXT) | instid1(VALU_DEP_4)
	v_med3_i32 v11, v11, 0, 13
	v_cmp_gt_i32_e64 s1, 1, v23
	s_delay_alu instid0(VALU_DEP_4) | instskip(SKIP_3) | instid1(VALU_DEP_3)
	v_lshl_or_b32 v1, v1, 9, 0x7c00
	v_cndmask_b32_e32 v24, 0x7c00, v24, vcc_lo
	v_cmp_eq_u32_e32 vcc_lo, 0x40f, v17
	v_or_b32_e32 v17, 0x1000, v30
	v_cndmask_b32_e32 v1, v24, v1, vcc_lo
	s_or_b32 vcc_lo, s3, s2
	s_delay_alu instid0(VALU_DEP_2) | instskip(SKIP_3) | instid1(VALU_DEP_4)
	v_lshrrev_b32_e32 v24, v11, v17
	v_add_co_ci_u32_e32 v10, vcc_lo, 0, v10, vcc_lo
	v_cmp_ne_u32_e32 vcc_lo, 0, v21
	v_and_or_b32 v37, 0x8000, v16, v1
	v_lshlrev_b32_e32 v29, v11, v24
	v_lshl_or_b32 v16, v23, 12, v30
	v_bfe_u32 v11, v15, 20, 11
	v_cndmask_b32_e64 v21, 0, 1, vcc_lo
	v_cmp_gt_i32_e32 vcc_lo, 31, v25
	v_lshrrev_b32_e32 v15, 16, v15
	s_delay_alu instid0(VALU_DEP_4) | instskip(NEXT) | instid1(VALU_DEP_4)
	v_sub_nc_u32_e32 v35, 0x3f1, v11
	v_lshl_or_b32 v21, v21, 9, 0x7c00
	v_cndmask_b32_e32 v10, 0x7c00, v10, vcc_lo
	v_cmp_eq_u32_e32 vcc_lo, 0x40f, v25
	v_cndmask_b32_e64 v25, 0, 1, s0
	v_med3_i32 v35, v35, 0, 13
	v_add_nc_u32_e32 v11, 0xfffffc10, v11
	v_cndmask_b32_e32 v21, v10, v21, vcc_lo
	v_cvt_f64_f32_e32 v[9:10], v9
	v_or_b32_e32 v25, v28, v25
	v_lshl_or_b32 v28, v34, 12, v32
	v_cmp_gt_i32_e32 vcc_lo, 1, v34
	v_lshrrev_b32_e32 v39, v35, v36
	s_delay_alu instid0(VALU_DEP_3) | instskip(SKIP_2) | instid1(VALU_DEP_4)
	v_cndmask_b32_e32 v25, v28, v25, vcc_lo
	v_cmp_ne_u32_e32 vcc_lo, v29, v17
	v_or_b32_e32 v29, 0x1000, v3
	v_lshlrev_b32_e32 v35, v35, v39
	s_delay_alu instid0(VALU_DEP_4) | instskip(SKIP_1) | instid1(VALU_DEP_2)
	v_and_b32_e32 v28, 7, v25
	v_cndmask_b32_e64 v17, 0, 1, vcc_lo
	v_cmp_lt_i32_e32 vcc_lo, 5, v28
	s_delay_alu instid0(VALU_DEP_2) | instskip(SKIP_1) | instid1(VALU_DEP_2)
	v_or_b32_e32 v1, v24, v17
	v_cmp_eq_u32_e64 s0, 3, v28
	v_cndmask_b32_e64 v1, v16, v1, s1
	v_sub_nc_u32_e32 v16, 0x3f1, v38
	s_delay_alu instid0(VALU_DEP_3) | instskip(SKIP_1) | instid1(VALU_DEP_3)
	s_or_b32 vcc_lo, s0, vcc_lo
	v_cmp_gt_i32_e64 s1, 31, v34
	v_and_b32_e32 v17, 7, v1
	s_delay_alu instid0(VALU_DEP_3) | instskip(SKIP_4) | instid1(VALU_DEP_4)
	v_med3_i32 v24, v16, 0, 13
	v_lshrrev_b32_e32 v16, 2, v25
	v_and_or_b32 v25, 0x8000, v27, v21
	v_or_b32_e32 v27, 0x1000, v5
	v_cmp_eq_u32_e64 s0, 3, v17
	v_add_co_ci_u32_e32 v16, vcc_lo, 0, v16, vcc_lo
	v_cmp_ne_u32_e32 vcc_lo, 0, v32
	s_delay_alu instid0(VALU_DEP_2)
	v_cndmask_b32_e64 v28, 0x7c00, v16, s1
	v_cmp_eq_u32_e64 s1, 0x40f, v34
	v_cndmask_b32_e64 v21, 0, 1, vcc_lo
	v_cmp_lt_i32_e32 vcc_lo, 5, v17
	v_mul_f64 v[16:17], v[9:10], s[10:11]
	v_lshrrev_b32_e32 v9, 2, v1
	v_bfe_u32 v1, v12, 20, 11
	v_lshl_or_b32 v21, v21, 9, 0x7c00
	s_or_b32 vcc_lo, s0, vcc_lo
	v_lshrrev_b32_e32 v34, v24, v27
	v_add_co_ci_u32_e32 v9, vcc_lo, 0, v9, vcc_lo
	v_cmp_ne_u32_e32 vcc_lo, 0, v30
	v_cndmask_b32_e64 v10, v28, v21, s1
	v_sub_nc_u32_e32 v28, 0x3f1, v1
	v_lshlrev_b32_e32 v40, v24, v34
	v_lshrrev_b32_e32 v24, 16, v31
	v_cndmask_b32_e64 v21, 0, 1, vcc_lo
	v_cmp_gt_i32_e32 vcc_lo, 31, v23
	v_and_or_b32 v10, 0x8000, v13, v10
	v_med3_i32 v30, v28, 0, 13
	v_fma_f16 v13, v41, v26, -v33
	v_lshl_or_b32 v21, v21, 9, 0x7c00
	v_cndmask_b32_e32 v9, 0x7c00, v9, vcc_lo
	v_cmp_eq_u32_e32 vcc_lo, 0x40f, v23
	v_and_b32_e32 v23, 0xffff, v37
	v_and_b32_e32 v31, 0xffff, v10
	v_lshrrev_b32_e32 v28, v30, v29
	v_cvt_f32_f16_e32 v13, v13
	v_cndmask_b32_e32 v9, v9, v21, vcc_lo
	v_lshl_or_b32 v25, v25, 16, v23
	v_add_co_u32 v23, vcc_lo, v19, s13
	v_lshlrev_b32_e32 v37, v30, v28
	s_delay_alu instid0(VALU_DEP_4)
	v_and_or_b32 v26, 0x8000, v24, v9
	v_add_co_ci_u32_e32 v24, vcc_lo, s12, v20, vcc_lo
	ds_load_2addr_b32 v[9:10], v176 offset0:168 offset1:217
	v_cvt_f64_f32_e32 v[21:22], v22
	v_lshl_or_b32 v26, v26, 16, v31
	v_cvt_f64_f32_e32 v[30:31], v13
	global_store_b32 v[19:20], v25, off
	global_store_b32 v[23:24], v26, off
	v_and_or_b32 v16, 0x1ff, v17, v16
	s_clause 0x2
	scratch_load_b32 v44, off, off offset:60
	scratch_load_b32 v43, off, off offset:56
	;; [unrolled: 1-line block ×3, first 2 shown]
	v_bfe_u32 v41, v17, 20, 11
	v_cmp_ne_u32_e32 vcc_lo, 0, v16
	v_lshrrev_b32_e32 v16, 8, v17
	v_lshrrev_b32_e32 v17, 16, v17
	v_cndmask_b32_e64 v13, 0, 1, vcc_lo
	v_add_co_u32 v32, vcc_lo, v23, s13
	v_add_co_ci_u32_e32 v33, vcc_lo, s12, v24, vcc_lo
	scratch_load_b32 v24, off, off offset:68 ; 4-byte Folded Reload
	v_cmp_ne_u32_e32 vcc_lo, v35, v36
	scratch_load_b32 v36, off, off offset:64 ; 4-byte Folded Reload
	s_waitcnt lgkmcnt(0)
	v_lshrrev_b32_e32 v19, 16, v9
	v_and_or_b32 v26, 0xffe, v16, v13
	v_sub_nc_u32_e32 v13, 0x3f1, v41
	v_cndmask_b32_e64 v16, 0, 1, vcc_lo
	v_cmp_ne_u32_e32 vcc_lo, v40, v27
	v_add_nc_u32_e32 v27, 0xfffffc10, v38
	s_delay_alu instid0(VALU_DEP_4) | instskip(NEXT) | instid1(VALU_DEP_4)
	v_med3_i32 v35, v13, 0, 13
	v_or_b32_e32 v13, v39, v16
	v_lshl_or_b32 v16, v11, 12, v14
	v_mul_f64 v[20:21], v[21:22], s[10:11]
	v_cndmask_b32_e64 v22, 0, 1, vcc_lo
	v_cmp_gt_i32_e32 vcc_lo, 1, v11
	s_delay_alu instid0(VALU_DEP_4) | instskip(NEXT) | instid1(VALU_DEP_3)
	v_cndmask_b32_e32 v13, v16, v13, vcc_lo
	v_or_b32_e32 v16, v34, v22
	v_lshl_or_b32 v22, v27, 12, v5
	v_cmp_gt_i32_e32 vcc_lo, 1, v27
	v_or_b32_e32 v34, 0x1000, v26
	s_delay_alu instid0(VALU_DEP_3) | instskip(NEXT) | instid1(VALU_DEP_2)
	v_cndmask_b32_e32 v16, v22, v16, vcc_lo
	v_lshrrev_b32_e32 v39, v35, v34
	s_delay_alu instid0(VALU_DEP_2) | instskip(SKIP_1) | instid1(VALU_DEP_3)
	v_and_b32_e32 v38, 7, v16
	v_lshrrev_b32_e32 v16, 2, v16
	v_lshlrev_b32_e32 v35, v35, v39
	s_delay_alu instid0(VALU_DEP_3)
	v_cmp_lt_i32_e64 s1, 5, v38
	v_cmp_eq_u32_e64 s2, 3, v38
	v_and_or_b32 v38, 0x1ff, v21, v20
	s_waitcnt vmcnt(1)
	v_mul_f16_e32 v23, v24, v19
	s_waitcnt vmcnt(0)
	s_delay_alu instid0(VALU_DEP_1) | instskip(SKIP_1) | instid1(VALU_DEP_2)
	v_fmac_f16_e32 v23, v36, v9
	v_mul_f16_e32 v9, v24, v9
	v_cvt_f32_f16_e32 v23, v23
	s_delay_alu instid0(VALU_DEP_2)
	v_fma_f16 v9, v36, v19, -v9
	v_and_b32_e32 v19, 7, v13
	v_lshrrev_b32_e32 v36, 16, v8
	v_lshrrev_b32_e32 v13, 2, v13
	v_cvt_f64_f32_e32 v[24:25], v23
	v_cvt_f32_f16_e32 v9, v9
	v_cmp_lt_i32_e32 vcc_lo, 5, v19
	v_cmp_eq_u32_e64 s0, 3, v19
	v_mul_f64 v[22:23], v[30:31], s[10:11]
	s_delay_alu instid0(VALU_DEP_4) | instskip(SKIP_1) | instid1(VALU_DEP_4)
	v_cvt_f64_f32_e32 v[30:31], v9
	v_mul_f16_e32 v9, v44, v36
	s_or_b32 vcc_lo, s0, vcc_lo
	s_or_b32 s0, s2, s1
	v_add_co_ci_u32_e32 v13, vcc_lo, 0, v13, vcc_lo
	s_delay_alu instid0(VALU_DEP_2) | instskip(SKIP_2) | instid1(VALU_DEP_3)
	v_fmac_f16_e32 v9, v43, v8
	v_cmp_ne_u32_e32 vcc_lo, 0, v14
	v_mul_f16_e32 v8, v44, v8
	v_cvt_f32_f16_e32 v9, v9
	v_cndmask_b32_e64 v14, 0, 1, vcc_lo
	v_cmp_gt_i32_e32 vcc_lo, 31, v11
	s_delay_alu instid0(VALU_DEP_4) | instskip(SKIP_1) | instid1(VALU_DEP_4)
	v_fma_f16 v8, v43, v36, -v8
	v_lshrrev_b32_e32 v36, 16, v4
	v_lshl_or_b32 v42, v14, 9, 0x7c00
	v_cndmask_b32_e32 v40, 0x7c00, v13, vcc_lo
	v_cvt_f64_f32_e32 v[13:14], v9
	v_add_co_ci_u32_e64 v9, s0, 0, v16, s0
	v_cmp_ne_u32_e64 s0, 0, v5
	v_cmp_eq_u32_e32 vcc_lo, 0x40f, v11
	s_delay_alu instid0(VALU_DEP_2) | instskip(SKIP_4) | instid1(VALU_DEP_4)
	v_cndmask_b32_e64 v5, 0, 1, s0
	v_cmp_ne_u32_e64 s0, 0, v38
	v_cndmask_b32_e32 v16, v40, v42, vcc_lo
	v_cmp_eq_u32_e32 vcc_lo, 0x40f, v27
	v_mul_f64 v[19:20], v[24:25], s[10:11]
	v_cndmask_b32_e64 v11, 0, 1, s0
	v_cmp_gt_i32_e64 s0, 31, v27
	v_lshl_or_b32 v5, v5, 9, 0x7c00
	v_and_or_b32 v22, 0x1ff, v23, v22
	v_lshrrev_b32_e32 v24, 8, v23
	s_delay_alu instid0(VALU_DEP_4) | instskip(SKIP_2) | instid1(VALU_DEP_3)
	v_cndmask_b32_e64 v9, 0x7c00, v9, s0
	v_cmp_ne_u32_e64 s0, v37, v29
	v_add_nc_u32_e32 v29, 0xfffffc10, v1
	v_cndmask_b32_e32 v5, v9, v5, vcc_lo
	v_lshrrev_b32_e32 v9, 16, v18
	v_and_or_b32 v18, 0x8000, v15, v16
	v_mul_f64 v[15:16], v[30:31], s[10:11]
	v_cmp_ne_u32_e32 vcc_lo, 0, v22
	v_bfe_u32 v31, v21, 20, 11
	v_and_or_b32 v5, 0x8000, v9, v5
	v_and_b32_e32 v9, 0xffff, v18
	v_bfe_u32 v30, v23, 20, 11
	v_cndmask_b32_e64 v22, 0, 1, vcc_lo
	v_lshrrev_b32_e32 v23, 16, v23
	s_delay_alu instid0(VALU_DEP_4) | instskip(NEXT) | instid1(VALU_DEP_4)
	v_lshl_or_b32 v5, v5, 16, v9
	v_sub_nc_u32_e32 v18, 0x3f1, v30
	s_delay_alu instid0(VALU_DEP_4)
	v_and_or_b32 v38, 0xffe, v24, v22
	v_lshrrev_b32_e32 v22, 8, v21
	v_sub_nc_u32_e32 v24, 0x3f1, v31
	global_store_b32 v[32:33], v5, off
	v_med3_i32 v9, v18, 0, 13
	v_or_b32_e32 v18, 0x1000, v38
	v_and_or_b32 v40, 0xffe, v22, v11
	v_med3_i32 v22, v24, 0, 13
	v_add_co_u32 v24, vcc_lo, v32, s13
	v_add_co_ci_u32_e32 v25, vcc_lo, s12, v33, vcc_lo
	v_and_or_b32 v5, 0x1ff, v20, v19
	v_lshrrev_b32_e32 v11, 8, v20
	v_lshrrev_b32_e32 v42, v9, v18
	v_mul_f64 v[13:14], v[13:14], s[10:11]
	v_lshl_or_b32 v19, v29, 12, v3
	v_cmp_ne_u32_e32 vcc_lo, 0, v5
	v_or_b32_e32 v32, 0x1000, v40
	v_lshlrev_b32_e32 v9, v9, v42
	v_bfe_u32 v27, v20, 20, 11
	v_add_nc_u32_e32 v31, 0xfffffc10, v31
	v_cndmask_b32_e64 v5, 0, 1, vcc_lo
	v_lshrrev_b32_e32 v33, v22, v32
	v_cmp_ne_u32_e32 vcc_lo, v9, v18
	v_sub_nc_u32_e32 v9, 0x3f1, v27
	v_add_nc_u32_e32 v30, 0xfffffc10, v30
	v_and_or_b32 v11, 0xffe, v11, v5
	v_and_or_b32 v5, 0x1ff, v16, v15
	v_cndmask_b32_e64 v15, 0, 1, s0
	v_med3_i32 v9, v9, 0, 13
	v_lshrrev_b32_e32 v21, 16, v21
	v_or_b32_e32 v37, 0x1000, v11
	v_cmp_ne_u32_e64 s0, 0, v5
	v_lshrrev_b32_e32 v5, 8, v16
	v_or_b32_e32 v18, v28, v15
	v_lshrrev_b32_e32 v20, 16, v20
	s_delay_alu instid0(VALU_DEP_4) | instskip(SKIP_1) | instid1(VALU_DEP_2)
	v_cndmask_b32_e64 v1, 0, 1, s0
	v_cmp_gt_i32_e64 s0, 1, v29
	v_and_or_b32 v15, 0xffe, v5, v1
	scratch_load_b32 v5, off, off offset:52 ; 4-byte Folded Reload
	v_cndmask_b32_e64 v1, v19, v18, s0
	v_cmp_ne_u32_e64 s0, v35, v34
	v_add_nc_u32_e32 v34, 0xfffffc10, v41
	v_bfe_u32 v18, v16, 20, 11
	v_lshrrev_b32_e32 v41, 16, v12
	v_lshrrev_b32_e32 v19, v9, v37
	;; [unrolled: 1-line block ×3, first 2 shown]
	v_lshl_or_b32 v35, v34, 12, v26
	s_delay_alu instid0(VALU_DEP_3)
	v_lshlrev_b32_e32 v44, v9, v19
	s_waitcnt vmcnt(0)
	v_mul_f16_e32 v28, v5, v36
	v_mul_f16_e32 v43, v5, v4
	v_and_or_b32 v5, 0x1ff, v14, v13
	v_cndmask_b32_e64 v13, 0, 1, s0
	s_delay_alu instid0(VALU_DEP_4)
	v_fmac_f16_e32 v28, v46, v4
	v_and_b32_e32 v4, 7, v1
	v_lshrrev_b32_e32 v1, 2, v1
	v_cmp_ne_u32_e64 s2, 0, v5
	v_or_b32_e32 v13, v39, v13
	v_cvt_f32_f16_e32 v28, v28
	v_cmp_lt_i32_e64 s0, 5, v4
	v_cmp_eq_u32_e64 s1, 3, v4
	v_cndmask_b32_e64 v5, 0, 1, s2
	v_cmp_gt_i32_e64 s2, 1, v34
	v_sub_nc_u32_e32 v4, 0x3f1, v18
	s_delay_alu instid0(VALU_DEP_4) | instskip(NEXT) | instid1(SALU_CYCLE_1)
	s_or_b32 s0, s1, s0
	v_add_co_ci_u32_e64 v1, s0, 0, v1, s0
	v_cmp_ne_u32_e64 s0, 0, v3
	v_cndmask_b32_e64 v35, v35, v13, s2
	v_lshrrev_b32_e32 v13, 8, v14
	v_med3_i32 v4, v4, 0, 13
	s_delay_alu instid0(VALU_DEP_4) | instskip(SKIP_1) | instid1(VALU_DEP_2)
	v_cndmask_b32_e64 v3, 0, 1, s0
	v_cmp_gt_i32_e64 s0, 31, v29
	v_lshl_or_b32 v3, v3, 9, 0x7c00
	s_delay_alu instid0(VALU_DEP_2)
	v_cndmask_b32_e64 v39, 0x7c00, v1, s0
	v_and_or_b32 v1, 0xffe, v13, v5
	v_cmp_eq_u32_e64 s0, 0x40f, v29
	v_bfe_u32 v5, v14, 20, 11
	v_and_b32_e32 v29, 7, v35
	v_or_b32_e32 v13, 0x1000, v15
	s_delay_alu instid0(VALU_DEP_4) | instskip(NEXT) | instid1(VALU_DEP_4)
	v_cndmask_b32_e64 v39, v39, v3, s0
	v_sub_nc_u32_e32 v3, 0x3f1, v5
	s_delay_alu instid0(VALU_DEP_4)
	v_cmp_lt_i32_e64 s0, 5, v29
	v_cmp_eq_u32_e64 s1, 3, v29
	v_lshlrev_b32_e32 v29, v22, v33
	v_lshrrev_b32_e32 v12, v4, v13
	v_med3_i32 v45, v3, 0, 13
	v_cvt_f32_f16_e32 v3, v8
	v_lshrrev_b32_e32 v8, 2, v35
	s_or_b32 s0, s1, s0
	v_cmp_ne_u32_e64 s2, v29, v32
	v_lshlrev_b32_e32 v22, v4, v12
	v_cvt_f64_f32_e32 v[3:4], v3
	v_add_co_ci_u32_e64 v8, s0, 0, v8, s0
	v_cmp_ne_u32_e64 s0, 0, v26
	v_cndmask_b32_e64 v9, 0, 1, s2
	v_lshl_or_b32 v29, v31, 12, v40
	v_cmp_ne_u32_e64 s1, 0, v40
	v_or_b32_e32 v32, 0x1000, v1
	v_cndmask_b32_e64 v26, 0, 1, s0
	v_cmp_gt_i32_e64 s0, 31, v34
	v_or_b32_e32 v9, v33, v9
	v_lshl_or_b32 v33, v30, 12, v38
	v_add_nc_u32_e32 v5, 0xfffffc10, v5
	v_lshl_or_b32 v26, v26, 9, 0x7c00
	v_cndmask_b32_e64 v8, 0x7c00, v8, s0
	v_cmp_gt_i32_e64 s0, 1, v31
	s_delay_alu instid0(VALU_DEP_1) | instskip(SKIP_3) | instid1(VALU_DEP_3)
	v_cndmask_b32_e64 v9, v29, v9, s0
	v_cndmask_b32_e64 v29, 0, 1, vcc_lo
	v_cmp_eq_u32_e32 vcc_lo, 0x40f, v34
	v_cmp_gt_i32_e64 s0, 1, v30
	v_or_b32_e32 v29, v42, v29
	v_cndmask_b32_e32 v8, v8, v26, vcc_lo
	v_and_b32_e32 v26, 7, v9
	v_lshrrev_b32_e32 v9, 2, v9
	s_delay_alu instid0(VALU_DEP_4) | instskip(SKIP_1) | instid1(VALU_DEP_4)
	v_cndmask_b32_e64 v33, v33, v29, s0
	v_cvt_f64_f32_e32 v[28:29], v28
	v_cmp_lt_i32_e32 vcc_lo, 5, v26
	v_cmp_eq_u32_e64 s0, 3, v26
	v_and_or_b32 v17, 0x8000, v17, v8
	v_and_b32_e32 v34, 7, v33
	v_lshrrev_b32_e32 v33, 2, v33
	v_and_or_b32 v26, 0x8000, v41, v39
	s_or_b32 vcc_lo, s0, vcc_lo
	v_add_co_ci_u32_e32 v35, vcc_lo, 0, v9, vcc_lo
	v_cmp_lt_i32_e32 vcc_lo, 5, v34
	v_cmp_eq_u32_e64 s0, 3, v34
	v_mul_f64 v[8:9], v[3:4], s[10:11]
	v_cndmask_b32_e64 v3, 0, 1, s1
	v_and_b32_e32 v26, 0xffff, v26
	v_cmp_ne_u32_e64 s1, 0, v11
	s_or_b32 vcc_lo, s0, vcc_lo
	v_add_co_ci_u32_e32 v4, vcc_lo, 0, v33, vcc_lo
	v_cmp_ne_u32_e32 vcc_lo, 0, v38
	v_lshl_or_b32 v3, v3, 9, 0x7c00
	v_lshl_or_b32 v17, v17, 16, v26
	v_cndmask_b32_e64 v33, 0, 1, vcc_lo
	v_cmp_gt_i32_e32 vcc_lo, 31, v31
	s_delay_alu instid0(VALU_DEP_2) | instskip(SKIP_4) | instid1(VALU_DEP_4)
	v_lshl_or_b32 v33, v33, 9, 0x7c00
	v_cndmask_b32_e32 v34, 0x7c00, v35, vcc_lo
	v_cmp_gt_i32_e32 vcc_lo, 31, v30
	v_cndmask_b32_e32 v4, 0x7c00, v4, vcc_lo
	v_cmp_eq_u32_e32 vcc_lo, 0x40f, v31
	v_cndmask_b32_e32 v3, v34, v3, vcc_lo
	v_cmp_eq_u32_e32 vcc_lo, 0x40f, v30
	v_lshrrev_b32_e32 v30, v45, v32
	s_delay_alu instid0(VALU_DEP_3)
	v_and_or_b32 v3, 0x8000, v21, v3
	v_cndmask_b32_e32 v4, v4, v33, vcc_lo
	v_fma_f16 v21, v46, v36, -v43
	v_lshrrev_b32_e32 v33, 16, v7
	v_and_or_b32 v8, 0x1ff, v9, v8
	v_and_b32_e32 v26, 0xffff, v3
	v_and_or_b32 v23, 0x8000, v23, v4
	v_mul_f64 v[3:4], v[28:29], s[10:11]
	v_add_co_u32 v28, vcc_lo, v24, s13
	v_add_co_ci_u32_e32 v29, vcc_lo, s12, v25, vcc_lo
	s_delay_alu instid0(VALU_DEP_4)
	v_lshl_or_b32 v23, v23, 16, v26
	global_store_b32 v[24:25], v17, off
	global_store_b32 v[28:29], v23, off
	s_clause 0x2
	scratch_load_b32 v36, off, off offset:44
	scratch_load_b32 v38, off, off offset:40
	scratch_load_b32 v39, off, off offset:32
	v_add_co_u32 v25, vcc_lo, v28, s13
	v_add_co_ci_u32_e32 v26, vcc_lo, s12, v29, vcc_lo
	v_cmp_ne_u32_e32 vcc_lo, 0, v8
	v_cvt_f32_f16_e32 v21, v21
	v_add_nc_u32_e32 v29, 0xfffffc10, v27
	v_bfe_u32 v34, v9, 20, 11
	v_lshrrev_b32_e32 v35, 8, v9
	v_cndmask_b32_e64 v8, 0, 1, vcc_lo
	v_cmp_ne_u32_e32 vcc_lo, v44, v37
	v_cvt_f64_f32_e32 v[23:24], v21
	v_lshlrev_b32_e32 v31, v45, v30
	v_lshrrev_b32_e32 v9, 16, v9
	v_and_or_b32 v35, 0xffe, v35, v8
	v_cndmask_b32_e64 v21, 0, 1, vcc_lo
	v_cmp_gt_i32_e32 vcc_lo, 1, v29
	s_delay_alu instid0(VALU_DEP_2) | instskip(SKIP_3) | instid1(VALU_DEP_3)
	v_or_b32_e32 v19, v19, v21
	v_lshl_or_b32 v21, v29, 12, v11
	v_cndmask_b32_e64 v11, 0, 1, s1
	v_and_or_b32 v3, 0x1ff, v4, v3
	v_cndmask_b32_e32 v19, v21, v19, vcc_lo
	v_cmp_ne_u32_e32 vcc_lo, v22, v13
	v_add_nc_u32_e32 v22, 0xfffffc10, v18
	v_lshl_or_b32 v11, v11, 9, 0x7c00
	s_delay_alu instid0(VALU_DEP_4) | instskip(SKIP_3) | instid1(VALU_DEP_3)
	v_and_b32_e32 v8, 7, v19
	v_cndmask_b32_e64 v13, 0, 1, vcc_lo
	v_cmp_ne_u32_e32 vcc_lo, 0, v3
	v_cmp_gt_i32_e64 s0, 1, v22
	v_or_b32_e32 v18, v12, v13
	v_cndmask_b32_e64 v3, 0, 1, vcc_lo
	v_cmp_lt_i32_e32 vcc_lo, 5, v8
	v_mul_f64 v[12:13], v[23:24], s[10:11]
	v_bfe_u32 v23, v4, 20, 11
	s_waitcnt vmcnt(2)
	v_mul_f16_e32 v17, v36, v33
	s_waitcnt vmcnt(1)
	s_delay_alu instid0(VALU_DEP_1) | instskip(SKIP_2) | instid1(VALU_DEP_3)
	v_fmac_f16_e32 v17, v38, v7
	v_mul_f16_e32 v7, v36, v7
	v_or_b32_e32 v36, 0x1000, v35
	v_cvt_f32_f16_e32 v17, v17
	s_delay_alu instid0(VALU_DEP_3)
	v_fma_f16 v7, v38, v33, -v7
	scratch_load_b32 v38, off, off offset:36 ; 4-byte Folded Reload
	v_lshl_or_b32 v33, v22, 12, v15
	v_cvt_f64_f32_e32 v[27:28], v17
	v_sub_nc_u32_e32 v17, 0x3f1, v34
	v_cvt_f32_f16_e32 v7, v7
	s_delay_alu instid0(VALU_DEP_4)
	v_cndmask_b32_e64 v18, v33, v18, s0
	v_cmp_eq_u32_e64 s0, 3, v8
	v_add_nc_u32_e32 v34, 0xfffffc10, v34
	v_med3_i32 v21, v17, 0, 13
	v_lshrrev_b32_e32 v17, 8, v4
	v_cvt_f64_f32_e32 v[7:8], v7
	s_or_b32 vcc_lo, s0, vcc_lo
	v_cmp_gt_i32_e64 s1, 1, v34
	v_lshrrev_b32_e32 v4, 16, v4
	v_and_or_b32 v3, 0xffe, v17, v3
	v_lshrrev_b32_e32 v17, 2, v19
	v_and_b32_e32 v19, 7, v18
	s_delay_alu instid0(VALU_DEP_2) | instskip(NEXT) | instid1(VALU_DEP_2)
	v_add_co_ci_u32_e32 v24, vcc_lo, 0, v17, vcc_lo
	v_cmp_lt_i32_e32 vcc_lo, 5, v19
	v_cmp_eq_u32_e64 s0, 3, v19
	v_lshrrev_b32_e32 v19, 2, v18
	s_delay_alu instid0(VALU_DEP_2) | instskip(NEXT) | instid1(VALU_DEP_1)
	s_or_b32 vcc_lo, s0, vcc_lo
	v_add_co_ci_u32_e32 v19, vcc_lo, 0, v19, vcc_lo
	v_cmp_ne_u32_e32 vcc_lo, 0, v15
	v_cndmask_b32_e64 v15, 0, 1, vcc_lo
	v_cmp_gt_i32_e32 vcc_lo, 31, v29
	v_mul_f64 v[17:18], v[27:28], s[10:11]
	s_delay_alu instid0(VALU_DEP_3) | instskip(SKIP_4) | instid1(VALU_DEP_4)
	v_lshl_or_b32 v15, v15, 9, 0x7c00
	v_cndmask_b32_e32 v24, 0x7c00, v24, vcc_lo
	v_cmp_gt_i32_e32 vcc_lo, 31, v22
	v_cndmask_b32_e32 v19, 0x7c00, v19, vcc_lo
	v_cmp_eq_u32_e32 vcc_lo, 0x40f, v29
	v_cndmask_b32_e32 v11, v24, v11, vcc_lo
	v_cmp_eq_u32_e32 vcc_lo, 0x40f, v22
	v_sub_nc_u32_e32 v24, 0x3f1, v23
	v_or_b32_e32 v22, 0x1000, v3
	s_delay_alu instid0(VALU_DEP_4) | instskip(SKIP_4) | instid1(VALU_DEP_4)
	v_and_or_b32 v11, 0x8000, v20, v11
	v_cndmask_b32_e32 v15, v19, v15, vcc_lo
	v_and_or_b32 v20, 0x1ff, v13, v12
	v_med3_i32 v19, v24, 0, 13
	v_lshrrev_b32_e32 v24, v21, v36
	v_and_or_b32 v15, 0x8000, v16, v15
	v_and_b32_e32 v16, 0xffff, v11
	v_mul_f64 v[11:12], v[7:8], s[10:11]
	v_cmp_ne_u32_e32 vcc_lo, 0, v20
	v_lshrrev_b32_e32 v8, 8, v13
	v_lshlrev_b32_e32 v21, v21, v24
	v_lshl_or_b32 v15, v15, 16, v16
	v_bfe_u32 v20, v13, 20, 11
	v_cndmask_b32_e64 v7, 0, 1, vcc_lo
	v_lshrrev_b32_e32 v27, v19, v22
	v_lshrrev_b32_e32 v13, 16, v13
	global_store_b32 v[25:26], v15, off
	v_and_or_b32 v17, 0x1ff, v18, v17
	v_and_or_b32 v28, 0xffe, v8, v7
	v_add_co_u32 v7, vcc_lo, v25, s13
	v_add_co_ci_u32_e32 v8, vcc_lo, s12, v26, vcc_lo
	s_delay_alu instid0(VALU_DEP_4)
	v_cmp_ne_u32_e32 vcc_lo, 0, v17
	v_lshrrev_b32_e32 v26, 16, v2
	v_sub_nc_u32_e32 v16, 0x3f1, v20
	v_lshlrev_b32_e32 v19, v19, v27
	v_lshrrev_b32_e32 v29, 8, v18
	v_cndmask_b32_e64 v17, 0, 1, vcc_lo
	v_cmp_ne_u32_e32 vcc_lo, v31, v32
	v_med3_i32 v15, v16, 0, 13
	v_or_b32_e32 v16, 0x1000, v28
	v_bfe_u32 v33, v18, 20, 11
	v_and_or_b32 v17, 0xffe, v29, v17
	v_cndmask_b32_e64 v31, 0, 1, vcc_lo
	v_cmp_gt_i32_e32 vcc_lo, 1, v5
	v_lshrrev_b32_e32 v25, v15, v16
	v_sub_nc_u32_e32 v29, 0x3f1, v33
	v_or_b32_e32 v32, 0x1000, v17
	v_lshrrev_b32_e32 v18, 16, v18
	s_delay_alu instid0(VALU_DEP_4) | instskip(NEXT) | instid1(VALU_DEP_4)
	v_lshlrev_b32_e32 v15, v15, v25
	v_med3_i32 v29, v29, 0, 13
	v_and_or_b32 v11, 0x1ff, v12, v11
	s_waitcnt vmcnt(0)
	v_mul_f16_e32 v37, v38, v26
	v_mul_f16_e32 v38, v38, v2
	s_delay_alu instid0(VALU_DEP_2) | instskip(SKIP_2) | instid1(VALU_DEP_4)
	v_fmac_f16_e32 v37, v39, v2
	v_or_b32_e32 v2, v30, v31
	v_lshl_or_b32 v30, v5, 12, v1
	v_fma_f16 v26, v39, v26, -v38
	v_lshrrev_b32_e32 v31, v29, v32
	v_bfe_u32 v38, v12, 20, 11
	s_delay_alu instid0(VALU_DEP_4) | instskip(SKIP_2) | instid1(VALU_DEP_3)
	v_cndmask_b32_e32 v2, v30, v2, vcc_lo
	v_cmp_ne_u32_e32 vcc_lo, 0, v11
	v_lshrrev_b32_e32 v30, 8, v12
	v_and_b32_e32 v39, 7, v2
	v_cndmask_b32_e64 v11, 0, 1, vcc_lo
	v_cmp_ne_u32_e32 vcc_lo, v21, v36
	v_lshrrev_b32_e32 v2, 2, v2
	s_delay_alu instid0(VALU_DEP_4) | instskip(NEXT) | instid1(VALU_DEP_4)
	v_cmp_eq_u32_e64 s0, 3, v39
	v_and_or_b32 v11, 0xffe, v30, v11
	v_cndmask_b32_e64 v21, 0, 1, vcc_lo
	v_cmp_lt_i32_e32 vcc_lo, 5, v39
	v_sub_nc_u32_e32 v30, 0x3f1, v38
	s_delay_alu instid0(VALU_DEP_4) | instskip(NEXT) | instid1(VALU_DEP_4)
	v_or_b32_e32 v36, 0x1000, v11
	v_or_b32_e32 v21, v24, v21
	v_lshl_or_b32 v24, v34, 12, v35
	s_or_b32 vcc_lo, s0, vcc_lo
	v_med3_i32 v30, v30, 0, 13
	v_add_co_ci_u32_e32 v2, vcc_lo, 0, v2, vcc_lo
	s_delay_alu instid0(VALU_DEP_3) | instskip(SKIP_2) | instid1(VALU_DEP_3)
	v_cndmask_b32_e64 v21, v24, v21, s1
	v_cmp_ne_u32_e32 vcc_lo, 0, v1
	v_cmp_eq_u32_e64 s1, 0x40f, v5
	v_and_b32_e32 v24, 7, v21
	v_cndmask_b32_e64 v1, 0, 1, vcc_lo
	v_cmp_gt_i32_e32 vcc_lo, 31, v5
	v_lshrrev_b32_e32 v21, 2, v21
	s_delay_alu instid0(VALU_DEP_4) | instskip(NEXT) | instid1(VALU_DEP_4)
	v_cmp_eq_u32_e64 s0, 3, v24
	v_lshl_or_b32 v1, v1, 9, 0x7c00
	v_cndmask_b32_e32 v2, 0x7c00, v2, vcc_lo
	v_cmp_lt_i32_e32 vcc_lo, 5, v24
	s_delay_alu instid0(VALU_DEP_2)
	v_cndmask_b32_e64 v1, v2, v1, s1
	s_or_b32 vcc_lo, s0, vcc_lo
	v_lshrrev_b32_e32 v2, 16, v14
	v_add_co_ci_u32_e32 v5, vcc_lo, 0, v21, vcc_lo
	v_cmp_ne_u32_e32 vcc_lo, 0, v35
	v_lshrrev_b32_e32 v21, v30, v36
	s_delay_alu instid0(VALU_DEP_4) | instskip(SKIP_3) | instid1(VALU_DEP_3)
	v_and_or_b32 v24, 0x8000, v2, v1
	v_cvt_f32_f16_e32 v1, v37
	v_cndmask_b32_e64 v14, 0, 1, vcc_lo
	v_cmp_gt_i32_e32 vcc_lo, 31, v34
	v_cvt_f64_f32_e32 v[1:2], v1
	s_delay_alu instid0(VALU_DEP_3)
	v_lshl_or_b32 v14, v14, 9, 0x7c00
	v_cndmask_b32_e32 v5, 0x7c00, v5, vcc_lo
	v_cmp_ne_u32_e32 vcc_lo, v19, v22
	v_add_nc_u32_e32 v22, 0xfffffc10, v23
	v_cndmask_b32_e64 v19, 0, 1, vcc_lo
	v_cmp_ne_u32_e32 vcc_lo, v15, v16
	v_add_nc_u32_e32 v16, 0xfffffc10, v20
	v_cndmask_b32_e64 v15, 0, 1, vcc_lo
	v_cmp_eq_u32_e32 vcc_lo, 0x40f, v34
	s_delay_alu instid0(VALU_DEP_3) | instskip(NEXT) | instid1(VALU_DEP_3)
	v_lshl_or_b32 v20, v16, 12, v28
	v_or_b32_e32 v15, v25, v15
	v_cndmask_b32_e32 v5, v5, v14, vcc_lo
	v_or_b32_e32 v14, v27, v19
	v_lshl_or_b32 v19, v22, 12, v3
	v_cmp_gt_i32_e32 vcc_lo, 1, v22
	scratch_load_b32 v27, off, off offset:20 ; 4-byte Folded Reload
	v_and_or_b32 v5, 0x8000, v9, v5
	v_and_b32_e32 v9, 0xffff, v24
	v_lshlrev_b32_e32 v24, v30, v21
	v_cndmask_b32_e32 v14, v19, v14, vcc_lo
	v_cmp_gt_i32_e32 vcc_lo, 1, v16
	s_delay_alu instid0(VALU_DEP_4) | instskip(NEXT) | instid1(VALU_DEP_3)
	v_lshl_or_b32 v5, v5, 16, v9
	v_lshrrev_b32_e32 v9, 2, v14
	v_cndmask_b32_e32 v19, v20, v15, vcc_lo
	v_and_b32_e32 v15, 7, v14
	v_lshlrev_b32_e32 v20, v29, v31
	v_cvt_f32_f16_e32 v14, v26
	global_store_b32 v[7:8], v5, off
	v_and_b32_e32 v23, 7, v19
	v_cmp_lt_i32_e32 vcc_lo, 5, v15
	v_cmp_eq_u32_e64 s0, 3, v15
	v_lshrrev_b32_e32 v19, 2, v19
	v_cvt_f64_f32_e32 v[14:15], v14
	v_cmp_lt_i32_e64 s1, 5, v23
	v_cmp_eq_u32_e64 s2, 3, v23
	s_or_b32 vcc_lo, s0, vcc_lo
	v_add_nc_u32_e32 v23, 0xfffffc10, v33
	v_add_co_ci_u32_e32 v9, vcc_lo, 0, v9, vcc_lo
	v_cmp_ne_u32_e32 vcc_lo, 0, v3
	v_cmp_ne_u32_e64 s0, v24, v36
	scratch_load_b32 v24, off, off offset:24 ; 4-byte Folded Reload
	v_cndmask_b32_e64 v3, 0, 1, vcc_lo
	v_cmp_gt_i32_e32 vcc_lo, 31, v22
	s_delay_alu instid0(VALU_DEP_2)
	v_lshl_or_b32 v25, v3, 9, 0x7c00
	v_cndmask_b32_e32 v9, 0x7c00, v9, vcc_lo
	v_cmp_ne_u32_e32 vcc_lo, v20, v32
	v_mul_f64 v[2:3], v[1:2], s[10:11]
	v_cndmask_b32_e64 v20, 0, 1, vcc_lo
	s_or_b32 vcc_lo, s2, s1
	v_cmp_eq_u32_e64 s1, 0x40f, v23
	v_add_co_ci_u32_e32 v19, vcc_lo, 0, v19, vcc_lo
	v_cmp_ne_u32_e32 vcc_lo, 0, v28
	v_or_b32_e32 v1, v31, v20
	v_lshl_or_b32 v20, v23, 12, v17
	v_cndmask_b32_e64 v26, 0, 1, vcc_lo
	v_cmp_gt_i32_e32 vcc_lo, 1, v23
	s_delay_alu instid0(VALU_DEP_3) | instskip(SKIP_1) | instid1(VALU_DEP_4)
	v_cndmask_b32_e32 v1, v20, v1, vcc_lo
	v_cmp_gt_i32_e32 vcc_lo, 31, v16
	v_lshl_or_b32 v20, v26, 9, 0x7c00
	v_cndmask_b32_e32 v19, 0x7c00, v19, vcc_lo
	v_cmp_eq_u32_e32 vcc_lo, 0x40f, v22
	v_and_b32_e32 v22, 7, v1
	v_lshrrev_b32_e32 v1, 2, v1
	v_cndmask_b32_e32 v9, v9, v25, vcc_lo
	scratch_load_b32 v25, off, off offset:28 ; 4-byte Folded Reload
	v_cmp_eq_u32_e32 vcc_lo, 0x40f, v16
	v_and_or_b32 v9, 0x8000, v4, v9
	v_cndmask_b32_e64 v4, 0, 1, s0
	v_cndmask_b32_e32 v16, v19, v20, vcc_lo
	v_cmp_lt_i32_e32 vcc_lo, 5, v22
	v_cmp_eq_u32_e64 s0, 3, v22
	v_add_nc_u32_e32 v19, 0xfffffc10, v38
	v_and_or_b32 v2, 0x1ff, v3, v2
	v_and_or_b32 v20, 0x8000, v13, v16
	v_or_b32_e32 v13, v21, v4
	s_or_b32 vcc_lo, s0, vcc_lo
	v_lshl_or_b32 v16, v19, 12, v11
	v_add_co_ci_u32_e32 v1, vcc_lo, 0, v1, vcc_lo
	v_mul_f64 v[4:5], v[14:15], s[10:11]
	v_cmp_gt_i32_e32 vcc_lo, 1, v19
	v_lshrrev_b32_e32 v14, 16, v6
	v_bfe_u32 v22, v3, 20, 11
	v_and_b32_e32 v9, 0xffff, v9
	v_cndmask_b32_e32 v13, v16, v13, vcc_lo
	v_cmp_ne_u32_e32 vcc_lo, 0, v17
	s_delay_alu instid0(VALU_DEP_3) | instskip(NEXT) | instid1(VALU_DEP_3)
	v_lshl_or_b32 v20, v20, 16, v9
	v_and_b32_e32 v17, 7, v13
	v_cndmask_b32_e64 v16, 0, 1, vcc_lo
	v_cmp_gt_i32_e32 vcc_lo, 31, v23
	v_lshrrev_b32_e32 v13, 2, v13
	s_delay_alu instid0(VALU_DEP_4) | instskip(NEXT) | instid1(VALU_DEP_4)
	v_cmp_eq_u32_e64 s0, 3, v17
	v_lshl_or_b32 v16, v16, 9, 0x7c00
	v_cndmask_b32_e32 v21, 0x7c00, v1, vcc_lo
	v_cmp_ne_u32_e32 vcc_lo, 0, v2
	v_lshrrev_b32_e32 v2, 8, v3
	v_lshrrev_b32_e32 v3, 16, v3
	s_delay_alu instid0(VALU_DEP_4) | instskip(SKIP_2) | instid1(VALU_DEP_2)
	v_cndmask_b32_e64 v21, v21, v16, s1
	v_cndmask_b32_e64 v1, 0, 1, vcc_lo
	v_cmp_lt_i32_e32 vcc_lo, 5, v17
	v_and_or_b32 v17, 0xffe, v2, v1
	s_or_b32 vcc_lo, s0, vcc_lo
	v_add_co_ci_u32_e32 v13, vcc_lo, 0, v13, vcc_lo
	s_delay_alu instid0(VALU_DEP_2)
	v_or_b32_e32 v16, 0x1000, v17
	v_cmp_ne_u32_e32 vcc_lo, 0, v11
	v_and_or_b32 v4, 0x1ff, v5, v4
	v_bfe_u32 v26, v5, 20, 11
	v_cndmask_b32_e64 v11, 0, 1, vcc_lo
	v_cmp_gt_i32_e32 vcc_lo, 31, v19
	s_delay_alu instid0(VALU_DEP_2) | instskip(SKIP_2) | instid1(VALU_DEP_1)
	v_lshl_or_b32 v11, v11, 9, 0x7c00
	s_waitcnt vmcnt(0)
	v_mul_f16_e32 v15, v25, v14
	v_fmac_f16_e32 v15, v24, v6
	v_mul_f16_e32 v6, v25, v6
	v_lshrrev_b32_e32 v25, 8, v5
	v_lshrrev_b32_e32 v5, 16, v5
	s_delay_alu instid0(VALU_DEP_4) | instskip(NEXT) | instid1(VALU_DEP_4)
	v_cvt_f32_f16_e32 v15, v15
	v_fma_f16 v6, v24, v14, -v6
	v_cndmask_b32_e32 v24, 0x7c00, v13, vcc_lo
	v_cmp_ne_u32_e32 vcc_lo, 0, v4
	s_delay_alu instid0(VALU_DEP_4) | instskip(SKIP_4) | instid1(VALU_DEP_4)
	v_cvt_f64_f32_e32 v[1:2], v15
	v_sub_nc_u32_e32 v15, 0x3f1, v22
	v_cvt_f32_f16_e32 v6, v6
	v_cndmask_b32_e64 v4, 0, 1, vcc_lo
	v_add_nc_u32_e32 v22, 0xfffffc10, v22
	v_med3_i32 v15, v15, 0, 13
	s_delay_alu instid0(VALU_DEP_4) | instskip(NEXT) | instid1(VALU_DEP_4)
	v_cvt_f64_f32_e32 v[13:14], v6
	v_and_or_b32 v4, 0xffe, v25, v4
	s_delay_alu instid0(VALU_DEP_4) | instskip(NEXT) | instid1(VALU_DEP_4)
	v_cmp_eq_u32_e64 s1, 0x40f, v22
	v_lshrrev_b32_e32 v23, v15, v16
	s_delay_alu instid0(VALU_DEP_1) | instskip(NEXT) | instid1(VALU_DEP_1)
	v_lshlrev_b32_e32 v15, v15, v23
	v_cmp_ne_u32_e32 vcc_lo, v15, v16
	v_sub_nc_u32_e32 v15, 0x3f1, v26
	v_cndmask_b32_e64 v6, 0, 1, vcc_lo
	v_cmp_eq_u32_e32 vcc_lo, 0x40f, v19
	v_or_b32_e32 v19, 0x1000, v4
	s_delay_alu instid0(VALU_DEP_3)
	v_or_b32_e32 v6, v23, v6
	v_med3_i32 v23, v15, 0, 13
	v_cndmask_b32_e32 v11, v24, v11, vcc_lo
	v_lshl_or_b32 v24, v22, 12, v17
	v_cmp_gt_i32_e32 vcc_lo, 1, v22
	v_mul_f64 v[15:16], v[1:2], s[10:11]
	v_lshrrev_b32_e32 v1, 16, v12
	v_lshrrev_b32_e32 v12, v23, v19
	v_and_or_b32 v2, 0x8000, v18, v21
	v_lshrrev_b32_e32 v21, 16, v0
	v_cndmask_b32_e32 v18, v24, v6, vcc_lo
	v_and_or_b32 v1, 0x8000, v1, v11
	v_lshlrev_b32_e32 v9, v23, v12
	v_add_co_u32 v6, vcc_lo, v7, s8
	v_mul_f16_e32 v23, v27, v21
	v_and_b32_e32 v11, 7, v18
	s_delay_alu instid0(VALU_DEP_4)
	v_cmp_ne_u32_e64 s0, v9, v19
	v_add_nc_u32_e32 v19, 0xfffffc10, v26
	scratch_load_b32 v26, off, off offset:16 ; 4-byte Folded Reload
	v_add_co_ci_u32_e32 v7, vcc_lo, s9, v8, vcc_lo
	v_cndmask_b32_e64 v8, 0, 1, s0
	v_cmp_lt_i32_e32 vcc_lo, 5, v11
	v_cmp_eq_u32_e64 s0, 3, v11
	v_lshrrev_b32_e32 v11, 2, v18
	v_lshl_or_b32 v24, v19, 12, v4
	v_or_b32_e32 v18, v12, v8
	v_mul_f64 v[8:9], v[13:14], s[10:11]
	s_or_b32 vcc_lo, s0, vcc_lo
	v_and_b32_e32 v2, 0xffff, v2
	v_add_co_ci_u32_e32 v13, vcc_lo, 0, v11, vcc_lo
	v_cmp_ne_u32_e32 vcc_lo, 0, v17
	global_store_b32 v[6:7], v20, off
	v_cndmask_b32_e64 v14, 0, 1, vcc_lo
	v_cmp_gt_i32_e32 vcc_lo, 1, v19
	v_and_or_b32 v15, 0x1ff, v16, v15
	v_cndmask_b32_e32 v17, v24, v18, vcc_lo
	v_cmp_gt_i32_e32 vcc_lo, 31, v22
	v_lshl_or_b32 v18, v1, 16, v2
	v_lshl_or_b32 v14, v14, 9, 0x7c00
	v_cmp_ne_u32_e64 s0, 0, v15
	v_lshrrev_b32_e32 v24, 8, v16
	v_cndmask_b32_e32 v13, 0x7c00, v13, vcc_lo
	v_add_co_u32 v1, vcc_lo, v6, s13
	v_add_co_ci_u32_e32 v2, vcc_lo, s12, v7, vcc_lo
	v_cndmask_b32_e64 v15, 0, 1, s0
	s_delay_alu instid0(VALU_DEP_4)
	v_cndmask_b32_e64 v13, v13, v14, s1
	v_lshrrev_b32_e32 v14, 2, v17
	v_bfe_u32 v25, v16, 20, 11
	global_store_b32 v[1:2], v18, off
	v_and_or_b32 v15, 0xffe, v24, v15
	v_and_or_b32 v13, 0x8000, v3, v13
	v_lshrrev_b32_e32 v16, 16, v16
	s_delay_alu instid0(VALU_DEP_3)
	v_or_b32_e32 v22, 0x1000, v15
	v_and_or_b32 v8, 0x1ff, v9, v8
	s_waitcnt vmcnt(0)
	v_fmac_f16_e32 v23, v26, v0
	v_mul_f16_e32 v0, v27, v0
	scratch_load_b32 v27, off, off offset:12 ; 4-byte Folded Reload
	v_cvt_f32_f16_e32 v12, v23
	v_fma_f16 v0, v26, v21, -v0
	scratch_load_b32 v26, off, off offset:8 ; 4-byte Folded Reload
	v_and_b32_e32 v23, 7, v17
	v_sub_nc_u32_e32 v17, 0x3f1, v25
	v_cvt_f64_f32_e32 v[11:12], v12
	v_bfe_u32 v21, v9, 20, 11
	v_cvt_f32_f16_e32 v0, v0
	v_cmp_lt_i32_e32 vcc_lo, 5, v23
	v_cmp_eq_u32_e64 s0, 3, v23
	v_med3_i32 v17, v17, 0, 13
	s_delay_alu instid0(VALU_DEP_2) | instskip(NEXT) | instid1(VALU_DEP_1)
	s_or_b32 vcc_lo, s0, vcc_lo
	v_lshrrev_b32_e32 v23, v17, v22
	v_add_co_ci_u32_e32 v14, vcc_lo, 0, v14, vcc_lo
	v_cmp_ne_u32_e32 vcc_lo, 0, v4
	s_delay_alu instid0(VALU_DEP_3) | instskip(SKIP_2) | instid1(VALU_DEP_2)
	v_lshlrev_b32_e32 v17, v17, v23
	v_cndmask_b32_e64 v4, 0, 1, vcc_lo
	v_cmp_gt_i32_e32 vcc_lo, 31, v19
	v_lshl_or_b32 v24, v4, 9, 0x7c00
	v_cndmask_b32_e32 v14, 0x7c00, v14, vcc_lo
	v_cmp_ne_u32_e32 vcc_lo, 0, v8
	v_cndmask_b32_e64 v8, 0, 1, vcc_lo
	v_cmp_eq_u32_e32 vcc_lo, 0x40f, v19
	s_delay_alu instid0(VALU_DEP_4)
	v_cndmask_b32_e32 v14, v14, v24, vcc_lo
	v_cmp_ne_u32_e32 vcc_lo, v17, v22
	v_mul_f64 v[3:4], v[11:12], s[10:11]
	v_lshrrev_b32_e32 v11, 8, v9
	v_add_nc_u32_e32 v17, 0xfffffc10, v25
	v_lshrrev_b32_e32 v24, 16, v10
	v_and_or_b32 v5, 0x8000, v5, v14
	v_lshrrev_b32_e32 v9, 16, v9
	v_and_or_b32 v19, 0xffe, v11, v8
	v_sub_nc_u32_e32 v8, 0x3f1, v21
	v_cvt_f64_f32_e32 v[11:12], v0
	v_cndmask_b32_e64 v0, 0, 1, vcc_lo
	v_cmp_gt_i32_e32 vcc_lo, 1, v17
	v_or_b32_e32 v22, 0x1000, v19
	v_med3_i32 v8, v8, 0, 13
	s_delay_alu instid0(VALU_DEP_4) | instskip(SKIP_1) | instid1(VALU_DEP_3)
	v_or_b32_e32 v0, v23, v0
	v_lshl_or_b32 v23, v17, 12, v15
	v_lshrrev_b32_e32 v25, v8, v22
	s_delay_alu instid0(VALU_DEP_2) | instskip(SKIP_1) | instid1(VALU_DEP_3)
	v_cndmask_b32_e32 v14, v23, v0, vcc_lo
	v_and_b32_e32 v0, 0xffff, v13
	v_lshlrev_b32_e32 v6, v8, v25
	v_add_nc_u32_e32 v13, 0xfffffc10, v21
	s_delay_alu instid0(VALU_DEP_4) | instskip(NEXT) | instid1(VALU_DEP_4)
	v_and_b32_e32 v7, 7, v14
	v_lshl_or_b32 v0, v5, 16, v0
	s_delay_alu instid0(VALU_DEP_4) | instskip(NEXT) | instid1(VALU_DEP_4)
	v_cmp_ne_u32_e64 s0, v6, v22
	v_lshl_or_b32 v20, v13, 12, v19
	v_lshrrev_b32_e32 v14, 2, v14
	v_cmp_lt_i32_e32 vcc_lo, 5, v7
	s_delay_alu instid0(VALU_DEP_4) | instskip(SKIP_1) | instid1(VALU_DEP_2)
	v_cndmask_b32_e64 v8, 0, 1, s0
	v_cmp_eq_u32_e64 s0, 3, v7
	v_or_b32_e32 v18, v25, v8
	scratch_load_b32 v25, off, off offset:4 ; 4-byte Folded Reload
	v_and_or_b32 v3, 0x1ff, v4, v3
	s_or_b32 vcc_lo, s0, vcc_lo
	v_lshrrev_b32_e32 v21, 8, v4
	v_bfe_u32 v22, v4, 20, 11
	v_add_co_ci_u32_e32 v14, vcc_lo, 0, v14, vcc_lo
	v_cmp_ne_u32_e64 s1, 0, v3
	v_mul_f64 v[7:8], v[11:12], s[10:11]
	v_cmp_ne_u32_e32 vcc_lo, 0, v15
	v_sub_nc_u32_e32 v12, 0x3f1, v22
	s_delay_alu instid0(VALU_DEP_4) | instskip(SKIP_2) | instid1(VALU_DEP_4)
	v_cndmask_b32_e64 v3, 0, 1, s1
	v_cmp_gt_i32_e64 s1, 1, v13
	v_cndmask_b32_e64 v15, 0, 1, vcc_lo
	v_med3_i32 v12, v12, 0, 13
	s_delay_alu instid0(VALU_DEP_4) | instskip(NEXT) | instid1(VALU_DEP_4)
	v_and_or_b32 v3, 0xffe, v21, v3
	v_cndmask_b32_e64 v11, v20, v18, s1
	v_cmp_gt_i32_e64 s1, 31, v17
	v_lshl_or_b32 v15, v15, 9, 0x7c00
	s_delay_alu instid0(VALU_DEP_4) | instskip(NEXT) | instid1(VALU_DEP_4)
	v_or_b32_e32 v20, 0x1000, v3
	v_and_b32_e32 v18, 7, v11
	v_lshrrev_b32_e32 v11, 2, v11
	v_cndmask_b32_e64 v14, 0x7c00, v14, s1
	s_delay_alu instid0(VALU_DEP_3) | instskip(SKIP_2) | instid1(VALU_DEP_2)
	v_cmp_lt_i32_e32 vcc_lo, 5, v18
	v_cmp_eq_u32_e64 s0, 3, v18
	v_lshrrev_b32_e32 v18, v12, v20
	s_or_b32 vcc_lo, s0, vcc_lo
	s_delay_alu instid0(VALU_DEP_1)
	v_lshlrev_b32_e32 v12, v12, v18
	v_add_co_ci_u32_e32 v11, vcc_lo, 0, v11, vcc_lo
	v_cmp_eq_u32_e32 vcc_lo, 0x40f, v17
	ds_load_b32 v17, v251 offset:9408
	v_cndmask_b32_e32 v14, v14, v15, vcc_lo
	v_cmp_ne_u32_e32 vcc_lo, 0, v19
	v_add_nc_u32_e32 v19, 0xfffffc10, v22
	v_and_or_b32 v7, 0x1ff, v8, v7
	s_delay_alu instid0(VALU_DEP_4) | instskip(SKIP_3) | instid1(VALU_DEP_4)
	v_and_or_b32 v16, 0x8000, v16, v14
	v_cndmask_b32_e64 v15, 0, 1, vcc_lo
	v_cmp_ne_u32_e32 vcc_lo, v12, v20
	v_lshrrev_b32_e32 v14, 8, v8
	v_and_b32_e32 v16, 0xffff, v16
	s_delay_alu instid0(VALU_DEP_4)
	v_lshl_or_b32 v15, v15, 9, 0x7c00
	v_cndmask_b32_e64 v12, 0, 1, vcc_lo
	v_cmp_gt_i32_e32 vcc_lo, 31, v13
	s_waitcnt lgkmcnt(0)
	v_lshrrev_b32_e32 v21, 16, v17
	v_cndmask_b32_e32 v20, 0x7c00, v11, vcc_lo
	v_or_b32_e32 v11, v18, v12
	v_lshl_or_b32 v12, v19, 12, v3
	v_cmp_gt_i32_e32 vcc_lo, 1, v19
	v_bfe_u32 v18, v8, 20, 11
	v_lshrrev_b32_e32 v8, 16, v8
	s_delay_alu instid0(VALU_DEP_4) | instskip(SKIP_3) | instid1(VALU_DEP_2)
	v_cndmask_b32_e32 v12, v12, v11, vcc_lo
	v_cmp_ne_u32_e32 vcc_lo, 0, v7
	v_cndmask_b32_e64 v7, 0, 1, vcc_lo
	v_cmp_eq_u32_e32 vcc_lo, 0x40f, v13
	v_and_or_b32 v7, 0xffe, v14, v7
	v_cndmask_b32_e32 v13, v20, v15, vcc_lo
	v_and_b32_e32 v15, 7, v12
	v_sub_nc_u32_e32 v14, 0x3f1, v18
	v_add_nc_u32_e32 v18, 0xfffffc10, v18
	v_or_b32_e32 v22, 0x1000, v7
	s_delay_alu instid0(VALU_DEP_4) | instskip(SKIP_2) | instid1(VALU_DEP_2)
	v_cmp_lt_i32_e32 vcc_lo, 5, v15
	v_cmp_eq_u32_e64 s0, 3, v15
	v_med3_i32 v14, v14, 0, 13
	s_or_b32 vcc_lo, s0, vcc_lo
	s_delay_alu instid0(VALU_DEP_1) | instskip(SKIP_3) | instid1(VALU_DEP_1)
	v_lshrrev_b32_e32 v15, v14, v22
	s_waitcnt vmcnt(2)
	v_mul_f16_e32 v23, v27, v24
	s_waitcnt vmcnt(1)
	v_fmac_f16_e32 v23, v26, v10
	v_mul_f16_e32 v10, v27, v10
	s_delay_alu instid0(VALU_DEP_2) | instskip(NEXT) | instid1(VALU_DEP_2)
	v_cvt_f32_f16_e32 v5, v23
	v_fma_f16 v10, v26, v24, -v10
	scratch_load_b32 v24, off, off          ; 4-byte Folded Reload
	v_and_or_b32 v23, 0x8000, v9, v13
	v_lshrrev_b32_e32 v9, 2, v12
	v_cvt_f64_f32_e32 v[5:6], v5
	v_cvt_f32_f16_e32 v10, v10
	s_delay_alu instid0(VALU_DEP_4) | instskip(NEXT) | instid1(VALU_DEP_2)
	v_lshl_or_b32 v16, v23, 16, v16
	v_cvt_f64_f32_e32 v[10:11], v10
	s_delay_alu instid0(VALU_DEP_4) | instskip(SKIP_2) | instid1(VALU_DEP_2)
	v_mul_f64 v[5:6], v[5:6], s[10:11]
	s_waitcnt vmcnt(1)
	v_mul_f16_e32 v20, v25, v21
	v_and_or_b32 v5, 0x1ff, v6, v5
	s_waitcnt vmcnt(0)
	s_delay_alu instid0(VALU_DEP_2) | instskip(NEXT) | instid1(VALU_DEP_1)
	v_fmac_f16_e32 v20, v24, v17
	v_cvt_f32_f16_e32 v12, v20
	v_add_co_ci_u32_e32 v20, vcc_lo, 0, v9, vcc_lo
	v_cmp_ne_u32_e32 vcc_lo, 0, v3
	v_lshlrev_b32_e32 v9, v14, v15
	s_delay_alu instid0(VALU_DEP_4) | instskip(SKIP_4) | instid1(VALU_DEP_4)
	v_cvt_f64_f32_e32 v[12:13], v12
	v_mul_f16_e32 v14, v25, v17
	v_lshrrev_b32_e32 v17, 8, v6
	v_cndmask_b32_e64 v3, 0, 1, vcc_lo
	v_cmp_ne_u32_e32 vcc_lo, 0, v5
	v_fma_f16 v14, v24, v21, -v14
	s_delay_alu instid0(VALU_DEP_3) | instskip(SKIP_2) | instid1(VALU_DEP_4)
	v_lshl_or_b32 v3, v3, 9, 0x7c00
	v_cndmask_b32_e64 v5, 0, 1, vcc_lo
	v_cmp_ne_u32_e32 vcc_lo, v9, v22
	v_cvt_f32_f16_e32 v14, v14
	v_mul_f64 v[9:10], v[10:11], s[10:11]
	v_bfe_u32 v22, v6, 20, 11
	v_and_or_b32 v5, 0xffe, v17, v5
	v_cndmask_b32_e64 v21, 0, 1, vcc_lo
	v_cmp_gt_i32_e32 vcc_lo, 31, v19
	v_lshrrev_b32_e32 v6, 16, v6
	v_sub_nc_u32_e32 v11, 0x3f1, v22
	v_or_b32_e32 v24, 0x1000, v5
	v_or_b32_e32 v17, v15, v21
	v_cvt_f64_f32_e32 v[14:15], v14
	v_lshl_or_b32 v21, v18, 12, v7
	v_cndmask_b32_e32 v20, 0x7c00, v20, vcc_lo
	v_cmp_gt_i32_e32 vcc_lo, 1, v18
	v_med3_i32 v11, v11, 0, 13
	s_delay_alu instid0(VALU_DEP_4) | instskip(SKIP_2) | instid1(VALU_DEP_3)
	v_cndmask_b32_e32 v17, v21, v17, vcc_lo
	v_add_co_u32 v1, vcc_lo, v1, s13
	v_add_co_ci_u32_e32 v2, vcc_lo, s12, v2, vcc_lo
	v_and_b32_e32 v21, 7, v17
	v_cmp_eq_u32_e32 vcc_lo, 0x40f, v19
	v_lshrrev_b32_e32 v25, v11, v24
	s_delay_alu instid0(VALU_DEP_3)
	v_cmp_eq_u32_e64 s0, 3, v21
	v_cndmask_b32_e32 v19, v20, v3, vcc_lo
	v_cmp_lt_i32_e32 vcc_lo, 5, v21
	v_lshrrev_b32_e32 v20, 16, v4
	v_mul_f64 v[3:4], v[12:13], s[10:11]
	v_lshrrev_b32_e32 v12, 2, v17
	v_lshlrev_b32_e32 v11, v11, v25
	s_or_b32 vcc_lo, s0, vcc_lo
	v_add_nc_u32_e32 v17, 0xfffffc10, v22
	v_and_or_b32 v19, 0x8000, v20, v19
	v_add_co_ci_u32_e32 v12, vcc_lo, 0, v12, vcc_lo
	v_cmp_ne_u32_e32 vcc_lo, 0, v7
	v_cmp_ne_u32_e64 s1, v11, v24
	v_lshl_or_b32 v22, v17, 12, v5
	v_and_or_b32 v9, 0x1ff, v10, v9
	v_cndmask_b32_e64 v7, 0, 1, vcc_lo
	v_cmp_gt_i32_e32 vcc_lo, 31, v18
	v_cndmask_b32_e64 v11, 0, 1, s1
	s_delay_alu instid0(VALU_DEP_3) | instskip(SKIP_2) | instid1(VALU_DEP_4)
	v_lshl_or_b32 v7, v7, 9, 0x7c00
	v_cndmask_b32_e32 v23, 0x7c00, v12, vcc_lo
	v_add_co_u32 v13, vcc_lo, v1, s13
	v_or_b32_e32 v21, v25, v11
	v_mul_f64 v[11:12], v[14:15], s[10:11]
	v_add_co_ci_u32_e32 v14, vcc_lo, s12, v2, vcc_lo
	v_cmp_gt_i32_e32 vcc_lo, 1, v17
	s_delay_alu instid0(VALU_DEP_4)
	v_cndmask_b32_e32 v15, v22, v21, vcc_lo
	v_cmp_ne_u32_e32 vcc_lo, 0, v9
	v_lshrrev_b32_e32 v21, 8, v10
	v_bfe_u32 v22, v10, 20, 11
	v_lshrrev_b32_e32 v10, 16, v10
	v_cndmask_b32_e64 v9, 0, 1, vcc_lo
	v_cmp_eq_u32_e32 vcc_lo, 0x40f, v18
	v_and_b32_e32 v18, 7, v15
	v_lshrrev_b32_e32 v15, 2, v15
	v_and_or_b32 v3, 0x1ff, v4, v3
	v_and_or_b32 v9, 0xffe, v21, v9
	v_cndmask_b32_e32 v7, v23, v7, vcc_lo
	v_sub_nc_u32_e32 v21, 0x3f1, v22
	v_cmp_lt_i32_e32 vcc_lo, 5, v18
	v_cmp_eq_u32_e64 s0, 3, v18
	v_and_b32_e32 v18, 0xffff, v19
	v_and_or_b32 v7, 0x8000, v8, v7
	v_or_b32_e32 v8, 0x1000, v9
	v_med3_i32 v20, v21, 0, 13
	s_or_b32 vcc_lo, s0, vcc_lo
	v_lshrrev_b32_e32 v21, 8, v4
	v_add_co_ci_u32_e32 v15, vcc_lo, 0, v15, vcc_lo
	s_delay_alu instid0(VALU_DEP_3) | instskip(SKIP_3) | instid1(VALU_DEP_4)
	v_lshrrev_b32_e32 v19, v20, v8
	v_cmp_ne_u32_e32 vcc_lo, 0, v3
	v_bfe_u32 v23, v4, 20, 11
	v_lshrrev_b32_e32 v4, 16, v4
	v_lshlrev_b32_e32 v20, v20, v19
	v_cndmask_b32_e64 v3, 0, 1, vcc_lo
	v_cmp_ne_u32_e32 vcc_lo, 0, v5
	v_and_or_b32 v11, 0x1ff, v12, v11
	v_lshrrev_b32_e32 v24, 8, v12
	v_bfe_u32 v25, v12, 20, 11
	v_and_or_b32 v3, 0xffe, v21, v3
	v_cndmask_b32_e64 v5, 0, 1, vcc_lo
	v_cmp_ne_u32_e32 vcc_lo, v20, v8
	v_sub_nc_u32_e32 v21, 0x3f1, v23
	v_add_nc_u32_e32 v20, 0xfffffc10, v22
	v_or_b32_e32 v22, 0x1000, v3
	v_lshl_or_b32 v5, v5, 9, 0x7c00
	v_cndmask_b32_e64 v8, 0, 1, vcc_lo
	v_cmp_gt_i32_e32 vcc_lo, 31, v17
	v_med3_i32 v21, v21, 0, 13
	s_delay_alu instid0(VALU_DEP_3)
	v_or_b32_e32 v8, v19, v8
	v_cndmask_b32_e32 v15, 0x7c00, v15, vcc_lo
	v_cmp_ne_u32_e32 vcc_lo, 0, v11
	v_lshl_or_b32 v19, v20, 12, v9
	v_lshrrev_b32_e32 v26, v21, v22
	v_cndmask_b32_e64 v11, 0, 1, vcc_lo
	v_cmp_gt_i32_e32 vcc_lo, 1, v20
	s_delay_alu instid0(VALU_DEP_2) | instskip(SKIP_3) | instid1(VALU_DEP_4)
	v_and_or_b32 v11, 0xffe, v24, v11
	v_sub_nc_u32_e32 v24, 0x3f1, v25
	v_dual_cndmask_b32 v8, v19, v8 :: v_dual_lshlrev_b32 v19, v21, v26
	v_cmp_eq_u32_e32 vcc_lo, 0x40f, v17
	v_or_b32_e32 v21, 0x1000, v11
	s_delay_alu instid0(VALU_DEP_4)
	v_med3_i32 v24, v24, 0, 13
	v_add_nc_u32_e32 v17, 0xfffffc10, v23
	v_and_b32_e32 v27, 7, v8
	v_cndmask_b32_e32 v5, v15, v5, vcc_lo
	v_cmp_ne_u32_e32 vcc_lo, v19, v22
	v_lshrrev_b32_e32 v19, v24, v21
	v_lshl_or_b32 v22, v17, 12, v3
	v_cmp_gt_i32_e64 s1, 1, v17
	v_cmp_eq_u32_e64 s0, 3, v27
	v_cndmask_b32_e64 v15, 0, 1, vcc_lo
	v_lshlrev_b32_e32 v23, v24, v19
	v_cmp_lt_i32_e32 vcc_lo, 5, v27
	v_lshrrev_b32_e32 v8, 2, v8
	v_and_or_b32 v5, 0x8000, v6, v5
	v_or_b32_e32 v15, v26, v15
	s_or_b32 vcc_lo, s0, vcc_lo
	s_delay_alu instid0(VALU_DEP_3) | instskip(NEXT) | instid1(VALU_DEP_2)
	v_add_co_ci_u32_e32 v8, vcc_lo, 0, v8, vcc_lo
	v_cndmask_b32_e64 v15, v22, v15, s1
	v_cmp_ne_u32_e64 s1, v23, v21
	v_add_nc_u32_e32 v22, 0xfffffc10, v25
	v_cmp_ne_u32_e32 vcc_lo, 0, v9
	v_and_b32_e32 v5, 0xffff, v5
	v_and_b32_e32 v23, 7, v15
	v_cndmask_b32_e64 v21, 0, 1, s1
	v_cmp_gt_i32_e64 s0, 1, v22
	v_cndmask_b32_e64 v9, 0, 1, vcc_lo
	v_lshrrev_b32_e32 v15, 2, v15
	v_cmp_lt_i32_e32 vcc_lo, 5, v23
	v_or_b32_e32 v19, v19, v21
	v_lshl_or_b32 v21, v22, 12, v11
	v_cmp_gt_i32_e64 s1, 31, v20
	v_lshl_or_b32 v9, v9, 9, 0x7c00
	s_delay_alu instid0(VALU_DEP_3) | instskip(SKIP_1) | instid1(VALU_DEP_4)
	v_cndmask_b32_e64 v6, v21, v19, s0
	v_cmp_eq_u32_e64 s0, 3, v23
	v_cndmask_b32_e64 v8, 0x7c00, v8, s1
	v_cmp_eq_u32_e64 s1, 0x40f, v20
	s_delay_alu instid0(VALU_DEP_4) | instskip(NEXT) | instid1(VALU_DEP_4)
	v_and_b32_e32 v19, 7, v6
	s_or_b32 vcc_lo, s0, vcc_lo
	v_lshrrev_b32_e32 v6, 2, v6
	v_add_co_ci_u32_e32 v15, vcc_lo, 0, v15, vcc_lo
	v_cmp_ne_u32_e32 vcc_lo, 0, v3
	v_cmp_eq_u32_e64 s0, 3, v19
	v_cndmask_b32_e64 v8, v8, v9, s1
	v_cmp_gt_i32_e64 s1, 31, v17
	v_cndmask_b32_e64 v3, 0, 1, vcc_lo
	v_cmp_lt_i32_e32 vcc_lo, 5, v19
	s_delay_alu instid0(VALU_DEP_3) | instskip(NEXT) | instid1(VALU_DEP_3)
	v_cndmask_b32_e64 v9, 0x7c00, v15, s1
	v_lshl_or_b32 v3, v3, 9, 0x7c00
	s_or_b32 vcc_lo, s0, vcc_lo
	v_add_co_ci_u32_e32 v6, vcc_lo, 0, v6, vcc_lo
	v_cmp_ne_u32_e32 vcc_lo, 0, v11
	v_cndmask_b32_e64 v11, 0, 1, vcc_lo
	v_cmp_eq_u32_e32 vcc_lo, 0x40f, v17
	v_cndmask_b32_e32 v3, v9, v3, vcc_lo
	v_cmp_gt_i32_e32 vcc_lo, 31, v22
	s_delay_alu instid0(VALU_DEP_4)
	v_lshl_or_b32 v9, v11, 9, 0x7c00
	v_lshl_or_b32 v11, v7, 16, v18
	v_and_or_b32 v7, 0x8000, v10, v8
	v_and_or_b32 v8, 0x8000, v4, v3
	v_cndmask_b32_e32 v6, 0x7c00, v6, vcc_lo
	v_cmp_eq_u32_e32 vcc_lo, 0x40f, v22
	s_delay_alu instid0(VALU_DEP_4) | instskip(NEXT) | instid1(VALU_DEP_4)
	v_lshl_or_b32 v10, v7, 16, v5
	v_and_b32_e32 v8, 0xffff, v8
	s_delay_alu instid0(VALU_DEP_4) | instskip(SKIP_3) | instid1(VALU_DEP_3)
	v_cndmask_b32_e32 v6, v6, v9, vcc_lo
	v_lshrrev_b32_e32 v9, 16, v12
	v_add_co_u32 v3, vcc_lo, v13, s13
	v_add_co_ci_u32_e32 v4, vcc_lo, s12, v14, vcc_lo
	v_and_or_b32 v7, 0x8000, v9, v6
	s_delay_alu instid0(VALU_DEP_3) | instskip(NEXT) | instid1(VALU_DEP_3)
	v_add_co_u32 v5, vcc_lo, v3, s13
	v_add_co_ci_u32_e32 v6, vcc_lo, s12, v4, vcc_lo
	s_delay_alu instid0(VALU_DEP_3) | instskip(NEXT) | instid1(VALU_DEP_3)
	v_lshl_or_b32 v9, v7, 16, v8
	v_add_co_u32 v7, vcc_lo, v5, s13
	s_delay_alu instid0(VALU_DEP_3)
	v_add_co_ci_u32_e32 v8, vcc_lo, s12, v6, vcc_lo
	global_store_b32 v[1:2], v0, off
	global_store_b32 v[13:14], v16, off
	;; [unrolled: 1-line block ×5, first 2 shown]
.LBB0_2:
	s_nop 0
	s_sendmsg sendmsg(MSG_DEALLOC_VGPRS)
	s_endpgm
	.section	.rodata,"a",@progbits
	.p2align	6, 0x0
	.amdhsa_kernel bluestein_single_fwd_len2401_dim1_half_op_CI_CI
		.amdhsa_group_segment_fixed_size 9604
		.amdhsa_private_segment_fixed_size 448
		.amdhsa_kernarg_size 104
		.amdhsa_user_sgpr_count 15
		.amdhsa_user_sgpr_dispatch_ptr 0
		.amdhsa_user_sgpr_queue_ptr 0
		.amdhsa_user_sgpr_kernarg_segment_ptr 1
		.amdhsa_user_sgpr_dispatch_id 0
		.amdhsa_user_sgpr_private_segment_size 0
		.amdhsa_wavefront_size32 1
		.amdhsa_uses_dynamic_stack 0
		.amdhsa_enable_private_segment 1
		.amdhsa_system_sgpr_workgroup_id_x 1
		.amdhsa_system_sgpr_workgroup_id_y 0
		.amdhsa_system_sgpr_workgroup_id_z 0
		.amdhsa_system_sgpr_workgroup_info 0
		.amdhsa_system_vgpr_workitem_id 0
		.amdhsa_next_free_vgpr 256
		.amdhsa_next_free_sgpr 20
		.amdhsa_reserve_vcc 1
		.amdhsa_float_round_mode_32 0
		.amdhsa_float_round_mode_16_64 0
		.amdhsa_float_denorm_mode_32 3
		.amdhsa_float_denorm_mode_16_64 3
		.amdhsa_dx10_clamp 1
		.amdhsa_ieee_mode 1
		.amdhsa_fp16_overflow 0
		.amdhsa_workgroup_processor_mode 1
		.amdhsa_memory_ordered 1
		.amdhsa_forward_progress 0
		.amdhsa_shared_vgpr_count 0
		.amdhsa_exception_fp_ieee_invalid_op 0
		.amdhsa_exception_fp_denorm_src 0
		.amdhsa_exception_fp_ieee_div_zero 0
		.amdhsa_exception_fp_ieee_overflow 0
		.amdhsa_exception_fp_ieee_underflow 0
		.amdhsa_exception_fp_ieee_inexact 0
		.amdhsa_exception_int_div_zero 0
	.end_amdhsa_kernel
	.text
.Lfunc_end0:
	.size	bluestein_single_fwd_len2401_dim1_half_op_CI_CI, .Lfunc_end0-bluestein_single_fwd_len2401_dim1_half_op_CI_CI
                                        ; -- End function
	.section	.AMDGPU.csdata,"",@progbits
; Kernel info:
; codeLenInByte = 89704
; NumSgprs: 22
; NumVgprs: 256
; ScratchSize: 448
; MemoryBound: 0
; FloatMode: 240
; IeeeMode: 1
; LDSByteSize: 9604 bytes/workgroup (compile time only)
; SGPRBlocks: 2
; VGPRBlocks: 31
; NumSGPRsForWavesPerEU: 22
; NumVGPRsForWavesPerEU: 256
; Occupancy: 5
; WaveLimiterHint : 1
; COMPUTE_PGM_RSRC2:SCRATCH_EN: 1
; COMPUTE_PGM_RSRC2:USER_SGPR: 15
; COMPUTE_PGM_RSRC2:TRAP_HANDLER: 0
; COMPUTE_PGM_RSRC2:TGID_X_EN: 1
; COMPUTE_PGM_RSRC2:TGID_Y_EN: 0
; COMPUTE_PGM_RSRC2:TGID_Z_EN: 0
; COMPUTE_PGM_RSRC2:TIDIG_COMP_CNT: 0
	.text
	.p2alignl 7, 3214868480
	.fill 96, 4, 3214868480
	.type	__hip_cuid_6022869a5c0ecdd1,@object ; @__hip_cuid_6022869a5c0ecdd1
	.section	.bss,"aw",@nobits
	.globl	__hip_cuid_6022869a5c0ecdd1
__hip_cuid_6022869a5c0ecdd1:
	.byte	0                               ; 0x0
	.size	__hip_cuid_6022869a5c0ecdd1, 1

	.ident	"AMD clang version 19.0.0git (https://github.com/RadeonOpenCompute/llvm-project roc-6.4.0 25133 c7fe45cf4b819c5991fe208aaa96edf142730f1d)"
	.section	".note.GNU-stack","",@progbits
	.addrsig
	.addrsig_sym __hip_cuid_6022869a5c0ecdd1
	.amdgpu_metadata
---
amdhsa.kernels:
  - .args:
      - .actual_access:  read_only
        .address_space:  global
        .offset:         0
        .size:           8
        .value_kind:     global_buffer
      - .actual_access:  read_only
        .address_space:  global
        .offset:         8
        .size:           8
        .value_kind:     global_buffer
      - .actual_access:  read_only
        .address_space:  global
        .offset:         16
        .size:           8
        .value_kind:     global_buffer
      - .actual_access:  read_only
        .address_space:  global
        .offset:         24
        .size:           8
        .value_kind:     global_buffer
      - .actual_access:  read_only
        .address_space:  global
        .offset:         32
        .size:           8
        .value_kind:     global_buffer
      - .offset:         40
        .size:           8
        .value_kind:     by_value
      - .address_space:  global
        .offset:         48
        .size:           8
        .value_kind:     global_buffer
      - .address_space:  global
        .offset:         56
        .size:           8
        .value_kind:     global_buffer
      - .address_space:  global
        .offset:         64
        .size:           8
        .value_kind:     global_buffer
      - .address_space:  global
        .offset:         72
        .size:           8
        .value_kind:     global_buffer
      - .offset:         80
        .size:           4
        .value_kind:     by_value
      - .address_space:  global
        .offset:         88
        .size:           8
        .value_kind:     global_buffer
      - .address_space:  global
        .offset:         96
        .size:           8
        .value_kind:     global_buffer
    .group_segment_fixed_size: 9604
    .kernarg_segment_align: 8
    .kernarg_segment_size: 104
    .language:       OpenCL C
    .language_version:
      - 2
      - 0
    .max_flat_workgroup_size: 49
    .name:           bluestein_single_fwd_len2401_dim1_half_op_CI_CI
    .private_segment_fixed_size: 448
    .sgpr_count:     22
    .sgpr_spill_count: 0
    .symbol:         bluestein_single_fwd_len2401_dim1_half_op_CI_CI.kd
    .uniform_work_group_size: 1
    .uses_dynamic_stack: false
    .vgpr_count:     256
    .vgpr_spill_count: 111
    .wavefront_size: 32
    .workgroup_processor_mode: 1
amdhsa.target:   amdgcn-amd-amdhsa--gfx1100
amdhsa.version:
  - 1
  - 2
...

	.end_amdgpu_metadata
